;; amdgpu-corpus repo=ROCm/rocFFT kind=compiled arch=gfx1100 opt=O3
	.text
	.amdgcn_target "amdgcn-amd-amdhsa--gfx1100"
	.amdhsa_code_object_version 6
	.protected	fft_rtc_fwd_len1122_factors_17_11_6_wgs_204_tpt_102_halfLds_dp_ip_CI_unitstride_sbrr_dirReg ; -- Begin function fft_rtc_fwd_len1122_factors_17_11_6_wgs_204_tpt_102_halfLds_dp_ip_CI_unitstride_sbrr_dirReg
	.globl	fft_rtc_fwd_len1122_factors_17_11_6_wgs_204_tpt_102_halfLds_dp_ip_CI_unitstride_sbrr_dirReg
	.p2align	8
	.type	fft_rtc_fwd_len1122_factors_17_11_6_wgs_204_tpt_102_halfLds_dp_ip_CI_unitstride_sbrr_dirReg,@function
fft_rtc_fwd_len1122_factors_17_11_6_wgs_204_tpt_102_halfLds_dp_ip_CI_unitstride_sbrr_dirReg: ; @fft_rtc_fwd_len1122_factors_17_11_6_wgs_204_tpt_102_halfLds_dp_ip_CI_unitstride_sbrr_dirReg
; %bb.0:
	s_clause 0x2
	s_load_b128 s[4:7], s[0:1], 0x0
	s_load_b64 s[8:9], s[0:1], 0x50
	s_load_b64 s[10:11], s[0:1], 0x18
	v_mul_u32_u24_e32 v1, 0x283, v0
	v_mov_b32_e32 v3, 0
	v_mov_b32_e32 v4, 0
	s_delay_alu instid0(VALU_DEP_3) | instskip(SKIP_1) | instid1(VALU_DEP_2)
	v_lshrrev_b32_e32 v122, 16, v1
	v_mov_b32_e32 v1, 0
	v_lshl_add_u32 v5, s15, 1, v122
	s_delay_alu instid0(VALU_DEP_2) | instskip(SKIP_2) | instid1(VALU_DEP_1)
	v_mov_b32_e32 v6, v1
	s_waitcnt lgkmcnt(0)
	v_cmp_lt_u64_e64 s2, s[6:7], 2
	s_and_b32 vcc_lo, exec_lo, s2
	s_cbranch_vccnz .LBB0_8
; %bb.1:
	s_load_b64 s[2:3], s[0:1], 0x10
	v_mov_b32_e32 v3, 0
	s_add_u32 s12, s10, 8
	v_mov_b32_e32 v4, 0
	s_addc_u32 s13, s11, 0
	s_mov_b64 s[16:17], 1
	s_waitcnt lgkmcnt(0)
	s_add_u32 s14, s2, 8
	s_addc_u32 s15, s3, 0
.LBB0_2:                                ; =>This Inner Loop Header: Depth=1
	s_load_b64 s[18:19], s[14:15], 0x0
                                        ; implicit-def: $vgpr7_vgpr8
	s_mov_b32 s2, exec_lo
	s_waitcnt lgkmcnt(0)
	v_or_b32_e32 v2, s19, v6
	s_delay_alu instid0(VALU_DEP_1)
	v_cmpx_ne_u64_e32 0, v[1:2]
	s_xor_b32 s3, exec_lo, s2
	s_cbranch_execz .LBB0_4
; %bb.3:                                ;   in Loop: Header=BB0_2 Depth=1
	v_cvt_f32_u32_e32 v2, s18
	v_cvt_f32_u32_e32 v7, s19
	s_sub_u32 s2, 0, s18
	s_subb_u32 s20, 0, s19
	s_delay_alu instid0(VALU_DEP_1) | instskip(NEXT) | instid1(VALU_DEP_1)
	v_fmac_f32_e32 v2, 0x4f800000, v7
	v_rcp_f32_e32 v2, v2
	s_waitcnt_depctr 0xfff
	v_mul_f32_e32 v2, 0x5f7ffffc, v2
	s_delay_alu instid0(VALU_DEP_1) | instskip(NEXT) | instid1(VALU_DEP_1)
	v_mul_f32_e32 v7, 0x2f800000, v2
	v_trunc_f32_e32 v7, v7
	s_delay_alu instid0(VALU_DEP_1) | instskip(SKIP_1) | instid1(VALU_DEP_2)
	v_fmac_f32_e32 v2, 0xcf800000, v7
	v_cvt_u32_f32_e32 v7, v7
	v_cvt_u32_f32_e32 v2, v2
	s_delay_alu instid0(VALU_DEP_2) | instskip(NEXT) | instid1(VALU_DEP_2)
	v_mul_lo_u32 v8, s2, v7
	v_mul_hi_u32 v9, s2, v2
	v_mul_lo_u32 v10, s20, v2
	s_delay_alu instid0(VALU_DEP_2) | instskip(SKIP_1) | instid1(VALU_DEP_2)
	v_add_nc_u32_e32 v8, v9, v8
	v_mul_lo_u32 v9, s2, v2
	v_add_nc_u32_e32 v8, v8, v10
	s_delay_alu instid0(VALU_DEP_2) | instskip(NEXT) | instid1(VALU_DEP_2)
	v_mul_hi_u32 v10, v2, v9
	v_mul_lo_u32 v11, v2, v8
	v_mul_hi_u32 v12, v2, v8
	v_mul_hi_u32 v13, v7, v9
	v_mul_lo_u32 v9, v7, v9
	v_mul_hi_u32 v14, v7, v8
	v_mul_lo_u32 v8, v7, v8
	v_add_co_u32 v10, vcc_lo, v10, v11
	v_add_co_ci_u32_e32 v11, vcc_lo, 0, v12, vcc_lo
	s_delay_alu instid0(VALU_DEP_2) | instskip(NEXT) | instid1(VALU_DEP_2)
	v_add_co_u32 v9, vcc_lo, v10, v9
	v_add_co_ci_u32_e32 v9, vcc_lo, v11, v13, vcc_lo
	v_add_co_ci_u32_e32 v10, vcc_lo, 0, v14, vcc_lo
	s_delay_alu instid0(VALU_DEP_2) | instskip(NEXT) | instid1(VALU_DEP_2)
	v_add_co_u32 v8, vcc_lo, v9, v8
	v_add_co_ci_u32_e32 v9, vcc_lo, 0, v10, vcc_lo
	s_delay_alu instid0(VALU_DEP_2) | instskip(NEXT) | instid1(VALU_DEP_2)
	v_add_co_u32 v2, vcc_lo, v2, v8
	v_add_co_ci_u32_e32 v7, vcc_lo, v7, v9, vcc_lo
	s_delay_alu instid0(VALU_DEP_2) | instskip(SKIP_1) | instid1(VALU_DEP_3)
	v_mul_hi_u32 v8, s2, v2
	v_mul_lo_u32 v10, s20, v2
	v_mul_lo_u32 v9, s2, v7
	s_delay_alu instid0(VALU_DEP_1) | instskip(SKIP_1) | instid1(VALU_DEP_2)
	v_add_nc_u32_e32 v8, v8, v9
	v_mul_lo_u32 v9, s2, v2
	v_add_nc_u32_e32 v8, v8, v10
	s_delay_alu instid0(VALU_DEP_2) | instskip(NEXT) | instid1(VALU_DEP_2)
	v_mul_hi_u32 v10, v2, v9
	v_mul_lo_u32 v11, v2, v8
	v_mul_hi_u32 v12, v2, v8
	v_mul_hi_u32 v13, v7, v9
	v_mul_lo_u32 v9, v7, v9
	v_mul_hi_u32 v14, v7, v8
	v_mul_lo_u32 v8, v7, v8
	v_add_co_u32 v10, vcc_lo, v10, v11
	v_add_co_ci_u32_e32 v11, vcc_lo, 0, v12, vcc_lo
	s_delay_alu instid0(VALU_DEP_2) | instskip(NEXT) | instid1(VALU_DEP_2)
	v_add_co_u32 v9, vcc_lo, v10, v9
	v_add_co_ci_u32_e32 v9, vcc_lo, v11, v13, vcc_lo
	v_add_co_ci_u32_e32 v10, vcc_lo, 0, v14, vcc_lo
	s_delay_alu instid0(VALU_DEP_2) | instskip(NEXT) | instid1(VALU_DEP_2)
	v_add_co_u32 v8, vcc_lo, v9, v8
	v_add_co_ci_u32_e32 v9, vcc_lo, 0, v10, vcc_lo
	s_delay_alu instid0(VALU_DEP_2) | instskip(NEXT) | instid1(VALU_DEP_2)
	v_add_co_u32 v2, vcc_lo, v2, v8
	v_add_co_ci_u32_e32 v13, vcc_lo, v7, v9, vcc_lo
	s_delay_alu instid0(VALU_DEP_2) | instskip(SKIP_1) | instid1(VALU_DEP_3)
	v_mul_hi_u32 v14, v5, v2
	v_mad_u64_u32 v[9:10], null, v6, v2, 0
	v_mad_u64_u32 v[7:8], null, v5, v13, 0
	;; [unrolled: 1-line block ×3, first 2 shown]
	s_delay_alu instid0(VALU_DEP_2) | instskip(NEXT) | instid1(VALU_DEP_3)
	v_add_co_u32 v2, vcc_lo, v14, v7
	v_add_co_ci_u32_e32 v7, vcc_lo, 0, v8, vcc_lo
	s_delay_alu instid0(VALU_DEP_2) | instskip(NEXT) | instid1(VALU_DEP_2)
	v_add_co_u32 v2, vcc_lo, v2, v9
	v_add_co_ci_u32_e32 v2, vcc_lo, v7, v10, vcc_lo
	v_add_co_ci_u32_e32 v7, vcc_lo, 0, v12, vcc_lo
	s_delay_alu instid0(VALU_DEP_2) | instskip(NEXT) | instid1(VALU_DEP_2)
	v_add_co_u32 v2, vcc_lo, v2, v11
	v_add_co_ci_u32_e32 v9, vcc_lo, 0, v7, vcc_lo
	s_delay_alu instid0(VALU_DEP_2) | instskip(SKIP_1) | instid1(VALU_DEP_3)
	v_mul_lo_u32 v10, s19, v2
	v_mad_u64_u32 v[7:8], null, s18, v2, 0
	v_mul_lo_u32 v11, s18, v9
	s_delay_alu instid0(VALU_DEP_2) | instskip(NEXT) | instid1(VALU_DEP_2)
	v_sub_co_u32 v7, vcc_lo, v5, v7
	v_add3_u32 v8, v8, v11, v10
	s_delay_alu instid0(VALU_DEP_1) | instskip(NEXT) | instid1(VALU_DEP_1)
	v_sub_nc_u32_e32 v10, v6, v8
	v_subrev_co_ci_u32_e64 v10, s2, s19, v10, vcc_lo
	v_add_co_u32 v11, s2, v2, 2
	s_delay_alu instid0(VALU_DEP_1) | instskip(SKIP_3) | instid1(VALU_DEP_3)
	v_add_co_ci_u32_e64 v12, s2, 0, v9, s2
	v_sub_co_u32 v13, s2, v7, s18
	v_sub_co_ci_u32_e32 v8, vcc_lo, v6, v8, vcc_lo
	v_subrev_co_ci_u32_e64 v10, s2, 0, v10, s2
	v_cmp_le_u32_e32 vcc_lo, s18, v13
	s_delay_alu instid0(VALU_DEP_3) | instskip(SKIP_1) | instid1(VALU_DEP_4)
	v_cmp_eq_u32_e64 s2, s19, v8
	v_cndmask_b32_e64 v13, 0, -1, vcc_lo
	v_cmp_le_u32_e32 vcc_lo, s19, v10
	v_cndmask_b32_e64 v14, 0, -1, vcc_lo
	v_cmp_le_u32_e32 vcc_lo, s18, v7
	;; [unrolled: 2-line block ×3, first 2 shown]
	v_cndmask_b32_e64 v15, 0, -1, vcc_lo
	v_cmp_eq_u32_e32 vcc_lo, s19, v10
	s_delay_alu instid0(VALU_DEP_2) | instskip(SKIP_3) | instid1(VALU_DEP_3)
	v_cndmask_b32_e64 v7, v15, v7, s2
	v_cndmask_b32_e32 v10, v14, v13, vcc_lo
	v_add_co_u32 v13, vcc_lo, v2, 1
	v_add_co_ci_u32_e32 v14, vcc_lo, 0, v9, vcc_lo
	v_cmp_ne_u32_e32 vcc_lo, 0, v10
	s_delay_alu instid0(VALU_DEP_2) | instskip(NEXT) | instid1(VALU_DEP_4)
	v_cndmask_b32_e32 v8, v14, v12, vcc_lo
	v_cndmask_b32_e32 v10, v13, v11, vcc_lo
	v_cmp_ne_u32_e32 vcc_lo, 0, v7
	s_delay_alu instid0(VALU_DEP_2)
	v_dual_cndmask_b32 v7, v2, v10 :: v_dual_cndmask_b32 v8, v9, v8
.LBB0_4:                                ;   in Loop: Header=BB0_2 Depth=1
	s_and_not1_saveexec_b32 s2, s3
	s_cbranch_execz .LBB0_6
; %bb.5:                                ;   in Loop: Header=BB0_2 Depth=1
	v_cvt_f32_u32_e32 v2, s18
	s_sub_i32 s3, 0, s18
	s_delay_alu instid0(VALU_DEP_1) | instskip(SKIP_2) | instid1(VALU_DEP_1)
	v_rcp_iflag_f32_e32 v2, v2
	s_waitcnt_depctr 0xfff
	v_mul_f32_e32 v2, 0x4f7ffffe, v2
	v_cvt_u32_f32_e32 v2, v2
	s_delay_alu instid0(VALU_DEP_1) | instskip(NEXT) | instid1(VALU_DEP_1)
	v_mul_lo_u32 v7, s3, v2
	v_mul_hi_u32 v7, v2, v7
	s_delay_alu instid0(VALU_DEP_1) | instskip(NEXT) | instid1(VALU_DEP_1)
	v_add_nc_u32_e32 v2, v2, v7
	v_mul_hi_u32 v2, v5, v2
	s_delay_alu instid0(VALU_DEP_1) | instskip(SKIP_1) | instid1(VALU_DEP_2)
	v_mul_lo_u32 v7, v2, s18
	v_add_nc_u32_e32 v8, 1, v2
	v_sub_nc_u32_e32 v7, v5, v7
	s_delay_alu instid0(VALU_DEP_1) | instskip(SKIP_1) | instid1(VALU_DEP_2)
	v_subrev_nc_u32_e32 v9, s18, v7
	v_cmp_le_u32_e32 vcc_lo, s18, v7
	v_dual_cndmask_b32 v7, v7, v9 :: v_dual_cndmask_b32 v2, v2, v8
	s_delay_alu instid0(VALU_DEP_1) | instskip(NEXT) | instid1(VALU_DEP_2)
	v_cmp_le_u32_e32 vcc_lo, s18, v7
	v_add_nc_u32_e32 v8, 1, v2
	s_delay_alu instid0(VALU_DEP_1)
	v_dual_cndmask_b32 v7, v2, v8 :: v_dual_mov_b32 v8, v1
.LBB0_6:                                ;   in Loop: Header=BB0_2 Depth=1
	s_or_b32 exec_lo, exec_lo, s2
	s_load_b64 s[2:3], s[12:13], 0x0
	s_delay_alu instid0(VALU_DEP_1) | instskip(NEXT) | instid1(VALU_DEP_2)
	v_mul_lo_u32 v2, v8, s18
	v_mul_lo_u32 v11, v7, s19
	v_mad_u64_u32 v[9:10], null, v7, s18, 0
	s_add_u32 s16, s16, 1
	s_addc_u32 s17, s17, 0
	s_add_u32 s12, s12, 8
	s_addc_u32 s13, s13, 0
	;; [unrolled: 2-line block ×3, first 2 shown]
	s_delay_alu instid0(VALU_DEP_1) | instskip(SKIP_1) | instid1(VALU_DEP_2)
	v_add3_u32 v2, v10, v11, v2
	v_sub_co_u32 v9, vcc_lo, v5, v9
	v_sub_co_ci_u32_e32 v2, vcc_lo, v6, v2, vcc_lo
	s_waitcnt lgkmcnt(0)
	s_delay_alu instid0(VALU_DEP_2) | instskip(NEXT) | instid1(VALU_DEP_2)
	v_mul_lo_u32 v10, s3, v9
	v_mul_lo_u32 v2, s2, v2
	v_mad_u64_u32 v[5:6], null, s2, v9, v[3:4]
	v_cmp_ge_u64_e64 s2, s[16:17], s[6:7]
	s_delay_alu instid0(VALU_DEP_1) | instskip(NEXT) | instid1(VALU_DEP_2)
	s_and_b32 vcc_lo, exec_lo, s2
	v_add3_u32 v4, v10, v6, v2
	s_delay_alu instid0(VALU_DEP_3)
	v_mov_b32_e32 v3, v5
	s_cbranch_vccnz .LBB0_9
; %bb.7:                                ;   in Loop: Header=BB0_2 Depth=1
	v_dual_mov_b32 v5, v7 :: v_dual_mov_b32 v6, v8
	s_branch .LBB0_2
.LBB0_8:
	v_dual_mov_b32 v8, v6 :: v_dual_mov_b32 v7, v5
.LBB0_9:
	s_lshl_b64 s[2:3], s[6:7], 3
	v_mul_hi_u32 v5, 0x2828283, v0
	s_add_u32 s2, s10, s2
	s_addc_u32 s3, s11, s3
                                        ; implicit-def: $vgpr10_vgpr11
                                        ; implicit-def: $vgpr14_vgpr15
                                        ; implicit-def: $vgpr18_vgpr19
                                        ; implicit-def: $vgpr30_vgpr31
                                        ; implicit-def: $vgpr26_vgpr27
                                        ; implicit-def: $vgpr34_vgpr35
                                        ; implicit-def: $vgpr38_vgpr39
                                        ; implicit-def: $vgpr42_vgpr43
                                        ; implicit-def: $vgpr46_vgpr47
                                        ; implicit-def: $vgpr62_vgpr63
                                        ; implicit-def: $vgpr66_vgpr67
                                        ; implicit-def: $vgpr70_vgpr71
                                        ; implicit-def: $vgpr58_vgpr59
                                        ; implicit-def: $vgpr54_vgpr55
                                        ; implicit-def: $vgpr50_vgpr51
                                        ; implicit-def: $vgpr22_vgpr23
	s_load_b64 s[2:3], s[2:3], 0x0
	s_load_b64 s[0:1], s[0:1], 0x20
	s_waitcnt lgkmcnt(0)
	v_mul_lo_u32 v6, s2, v8
	v_mul_lo_u32 v9, s3, v7
	v_mad_u64_u32 v[1:2], null, s2, v7, v[3:4]
	v_mul_u32_u24_e32 v3, 0x66, v5
	v_cmp_gt_u64_e32 vcc_lo, s[0:1], v[7:8]
	s_delay_alu instid0(VALU_DEP_2) | instskip(NEXT) | instid1(VALU_DEP_4)
	v_sub_nc_u32_e32 v92, v0, v3
	v_add3_u32 v2, v9, v2, v6
                                        ; implicit-def: $vgpr6_vgpr7
	s_delay_alu instid0(VALU_DEP_2) | instskip(NEXT) | instid1(VALU_DEP_2)
	v_cmp_gt_u32_e64 s0, 0x42, v92
	v_lshlrev_b64 v[94:95], 4, v[1:2]
	s_delay_alu instid0(VALU_DEP_2) | instskip(NEXT) | instid1(SALU_CYCLE_1)
	s_and_b32 s1, vcc_lo, s0
	s_and_saveexec_b32 s2, s1
	s_cbranch_execz .LBB0_11
; %bb.10:
	v_mov_b32_e32 v93, 0
	s_delay_alu instid0(VALU_DEP_2) | instskip(NEXT) | instid1(VALU_DEP_1)
	v_add_co_u32 v2, s1, s8, v94
	v_add_co_ci_u32_e64 v3, s1, s9, v95, s1
	s_delay_alu instid0(VALU_DEP_3) | instskip(NEXT) | instid1(VALU_DEP_1)
	v_lshlrev_b64 v[0:1], 4, v[92:93]
	v_add_co_u32 v0, s1, v2, v0
	s_delay_alu instid0(VALU_DEP_1)
	v_add_co_ci_u32_e64 v1, s1, v3, v1, s1
	s_clause 0x3
	global_load_b128 v[20:23], v[0:1], off
	global_load_b128 v[48:51], v[0:1], off offset:1056
	global_load_b128 v[52:55], v[0:1], off offset:2112
	global_load_b128 v[56:59], v[0:1], off offset:3168
	v_add_co_u32 v2, s1, 0x1000, v0
	s_delay_alu instid0(VALU_DEP_1) | instskip(SKIP_1) | instid1(VALU_DEP_1)
	v_add_co_ci_u32_e64 v3, s1, 0, v1, s1
	v_add_co_u32 v4, s1, 0x2000, v0
	v_add_co_ci_u32_e64 v5, s1, 0, v1, s1
	s_clause 0x7
	global_load_b128 v[68:71], v[2:3], off offset:128
	global_load_b128 v[64:67], v[2:3], off offset:1184
	;; [unrolled: 1-line block ×8, first 2 shown]
	v_add_co_u32 v2, s1, 0x3000, v0
	s_delay_alu instid0(VALU_DEP_1) | instskip(SKIP_1) | instid1(VALU_DEP_1)
	v_add_co_ci_u32_e64 v3, s1, 0, v1, s1
	v_add_co_u32 v0, s1, 0x4000, v0
	v_add_co_ci_u32_e64 v1, s1, 0, v1, s1
	s_clause 0x4
	global_load_b128 v[28:31], v[2:3], off offset:384
	global_load_b128 v[16:19], v[2:3], off offset:1440
	;; [unrolled: 1-line block ×5, first 2 shown]
.LBB0_11:
	s_or_b32 exec_lo, exec_lo, s2
	s_waitcnt vmcnt(0)
	v_add_f64 v[102:103], v[4:5], v[48:49]
	s_mov_b32 s2, 0x6ed5f1bb
	s_mov_b32 s3, 0xbfe348c8
	v_add_f64 v[120:121], v[50:51], -v[6:7]
	v_add_f64 v[98:99], v[8:9], v[52:53]
	s_mov_b32 s18, 0x6c9a05f6
	s_mov_b32 s6, 0xc61f0d01
	s_mov_b32 s19, 0xbfe9895b
	s_mov_b32 s7, 0xbfd183b1
	v_add_f64 v[118:119], v[54:55], -v[10:11]
	v_add_f64 v[90:91], v[12:13], v[56:57]
	s_mov_b32 s22, 0x923c349f
	s_mov_b32 s10, 0x370991
	;; [unrolled: 6-line block ×5, first 2 shown]
	s_mov_b32 s31, 0x3fefdd0d
	s_mov_b32 s17, 0x3fe7a5f6
	v_add_f64 v[100:101], v[62:63], -v[26:27]
	s_mov_b32 s34, 0x2a9d6da3
	s_mov_b32 s20, 0x7faef3
	;; [unrolled: 1-line block ×4, first 2 shown]
	v_mul_f64 v[112:113], v[102:103], s[2:3]
	v_add_f64 v[88:89], v[46:47], -v[34:35]
	s_mov_b32 s36, 0xacd6c6b4
	s_mov_b32 s24, 0x2b2883cd
	v_mul_f64 v[114:115], v[98:99], s[6:7]
	s_mov_b32 s37, 0xbfc7851a
	s_mov_b32 s25, 0x3fdc86fa
	v_add_f64 v[84:85], v[42:43], -v[38:39]
	s_mov_b32 s38, 0x7c9e640b
	s_mov_b32 s39, 0x3feca52d
	v_mul_f64 v[110:111], v[90:91], s[10:11]
	v_and_b32_e32 v93, 1, v122
	v_mul_f64 v[104:105], v[82:83], s[12:13]
	s_delay_alu instid0(VALU_DEP_2) | instskip(SKIP_1) | instid1(VALU_DEP_2)
	v_cmp_eq_u32_e64 s1, 1, v93
	v_mul_f64 v[96:97], v[80:81], s[14:15]
	v_cndmask_b32_e64 v93, 0, 0x462, s1
	v_mul_f64 v[86:87], v[74:75], s[16:17]
	s_delay_alu instid0(VALU_DEP_2) | instskip(SKIP_4) | instid1(VALU_DEP_4)
	v_lshlrev_b32_e32 v93, 3, v93
	v_fma_f64 v[0:1], v[120:121], s[18:19], v[112:113]
	v_fma_f64 v[2:3], v[118:119], s[22:23], v[114:115]
	;; [unrolled: 1-line block ×4, first 2 shown]
	v_add_f64 v[0:1], v[20:21], v[0:1]
	s_delay_alu instid0(VALU_DEP_1) | instskip(SKIP_1) | instid1(VALU_DEP_2)
	v_add_f64 v[0:1], v[2:3], v[0:1]
	v_fma_f64 v[2:3], v[108:109], s[28:29], v[104:105]
	v_add_f64 v[0:1], v[72:73], v[0:1]
	v_add_f64 v[72:73], v[32:33], v[44:45]
	s_delay_alu instid0(VALU_DEP_2) | instskip(NEXT) | instid1(VALU_DEP_2)
	v_add_f64 v[0:1], v[2:3], v[0:1]
	v_mul_f64 v[78:79], v[72:73], s[20:21]
	v_fma_f64 v[2:3], v[100:101], s[34:35], v[86:87]
	s_delay_alu instid0(VALU_DEP_3) | instskip(SKIP_1) | instid1(VALU_DEP_4)
	v_add_f64 v[76:77], v[76:77], v[0:1]
	v_add_f64 v[0:1], v[36:37], v[40:41]
	v_fma_f64 v[123:124], v[88:89], s[36:37], v[78:79]
	s_delay_alu instid0(VALU_DEP_3) | instskip(NEXT) | instid1(VALU_DEP_3)
	v_add_f64 v[2:3], v[2:3], v[76:77]
	v_mul_f64 v[76:77], v[0:1], s[24:25]
	s_delay_alu instid0(VALU_DEP_2) | instskip(NEXT) | instid1(VALU_DEP_2)
	v_add_f64 v[2:3], v[123:124], v[2:3]
	v_fma_f64 v[123:124], v[84:85], s[38:39], v[76:77]
	s_delay_alu instid0(VALU_DEP_1)
	v_add_f64 v[2:3], v[123:124], v[2:3]
	s_and_saveexec_b32 s1, s0
	s_cbranch_execz .LBB0_13
; %bb.12:
	v_add_f64 v[122:123], v[48:49], v[20:21]
	v_mul_f64 v[124:125], v[120:121], s[36:37]
	s_mov_b32 s41, 0xbfeec746
	s_mov_b32 s40, s22
	;; [unrolled: 1-line block ×4, first 2 shown]
	v_mul_f64 v[128:129], v[120:121], s[28:29]
	v_mul_f64 v[126:127], v[120:121], s[18:19]
	v_mul_f64 v[130:131], v[120:121], s[34:35]
	v_mul_f64 v[132:133], v[120:121], s[26:27]
	v_mul_f64 v[134:135], v[120:121], s[40:41]
	v_mul_f64 v[136:137], v[120:121], s[46:47]
	s_mov_b32 s51, 0xbfeca52d
	s_mov_b32 s50, s38
	;; [unrolled: 1-line block ×3, first 2 shown]
	v_mul_f64 v[120:121], v[120:121], s[50:51]
	s_mov_b32 s42, s26
	s_mov_b32 s53, 0x3fe0d888
	;; [unrolled: 1-line block ×3, first 2 shown]
	v_mul_f64 v[158:159], v[118:119], s[42:43]
	v_mul_f64 v[142:143], v[118:119], s[22:23]
	;; [unrolled: 1-line block ×9, first 2 shown]
	s_mov_b32 s45, 0x3fe58eea
	s_mov_b32 s44, s34
	;; [unrolled: 1-line block ×4, first 2 shown]
	v_mul_f64 v[152:153], v[116:117], s[28:29]
	v_mul_f64 v[176:177], v[116:117], s[46:47]
	;; [unrolled: 1-line block ×6, first 2 shown]
	v_add_f64 v[122:123], v[52:53], v[122:123]
	v_fma_f64 v[160:161], v[102:103], s[20:21], v[124:125]
	v_fma_f64 v[124:125], v[102:103], s[20:21], -v[124:125]
	v_mul_f64 v[116:117], v[116:117], s[50:51]
	s_mov_b32 s49, 0x3fe9895b
	s_mov_b32 s48, s18
	v_fma_f64 v[164:165], v[102:103], s[12:13], v[128:129]
	v_add_f64 v[112:113], v[112:113], -v[126:127]
	v_fma_f64 v[126:127], v[102:103], s[16:17], v[130:131]
	v_fma_f64 v[130:131], v[102:103], s[16:17], -v[130:131]
	v_fma_f64 v[168:169], v[102:103], s[10:11], -v[132:133]
	;; [unrolled: 1-line block ×5, first 2 shown]
	v_fma_f64 v[134:135], v[102:103], s[6:7], v[134:135]
	v_fma_f64 v[136:137], v[102:103], s[14:15], v[136:137]
	;; [unrolled: 1-line block ×3, first 2 shown]
	v_fma_f64 v[120:121], v[102:103], s[24:25], -v[120:121]
	v_fma_f64 v[102:103], v[102:103], s[10:11], v[132:133]
	v_fma_f64 v[192:193], v[98:99], s[10:11], v[158:159]
	v_fma_f64 v[158:159], v[98:99], s[10:11], -v[158:159]
	v_add_f64 v[114:115], v[114:115], -v[142:143]
	v_fma_f64 v[142:143], v[98:99], s[24:25], v[144:145]
	v_fma_f64 v[144:145], v[98:99], s[24:25], -v[144:145]
	v_fma_f64 v[186:187], v[98:99], s[16:17], v[146:147]
	v_fma_f64 v[188:189], v[98:99], s[20:21], v[148:149]
	v_fma_f64 v[148:149], v[98:99], s[20:21], -v[148:149]
	v_fma_f64 v[190:191], v[98:99], s[2:3], v[150:151]
	v_fma_f64 v[150:151], v[98:99], s[2:3], -v[150:151]
	v_fma_f64 v[146:147], v[98:99], s[16:17], -v[146:147]
	v_fma_f64 v[194:195], v[98:99], s[14:15], v[162:163]
	v_fma_f64 v[162:163], v[98:99], s[14:15], -v[162:163]
	v_fma_f64 v[196:197], v[98:99], s[12:13], v[118:119]
	v_fma_f64 v[98:99], v[98:99], s[12:13], -v[118:119]
	v_mul_f64 v[182:183], v[108:109], s[44:45]
	v_add_f64 v[110:111], v[110:111], -v[140:141]
	v_fma_f64 v[140:141], v[90:91], s[12:13], v[152:153]
	v_fma_f64 v[152:153], v[90:91], s[12:13], -v[152:153]
	v_add_f64 v[122:123], v[56:57], v[122:123]
	v_add_f64 v[160:161], v[20:21], v[160:161]
	;; [unrolled: 1-line block ×3, first 2 shown]
	v_mul_f64 v[184:185], v[108:109], s[48:49]
	v_fma_f64 v[200:201], v[90:91], s[14:15], v[176:177]
	v_mul_f64 v[138:139], v[108:109], s[28:29]
	v_add_f64 v[164:165], v[20:21], v[164:165]
	v_add_f64 v[112:113], v[20:21], v[112:113]
	;; [unrolled: 1-line block ×13, first 2 shown]
	v_mul_f64 v[166:167], v[108:109], s[36:37]
	v_mul_f64 v[132:133], v[108:109], s[22:23]
	;; [unrolled: 1-line block ×3, first 2 shown]
	v_fma_f64 v[174:175], v[90:91], s[6:7], v[154:155]
	v_fma_f64 v[154:155], v[90:91], s[6:7], -v[154:155]
	v_fma_f64 v[198:199], v[90:91], s[2:3], v[156:157]
	v_fma_f64 v[156:157], v[90:91], s[2:3], -v[156:157]
	v_fma_f64 v[176:177], v[90:91], s[14:15], -v[176:177]
	v_fma_f64 v[202:203], v[90:91], s[16:17], v[178:179]
	v_fma_f64 v[178:179], v[90:91], s[16:17], -v[178:179]
	v_fma_f64 v[204:205], v[90:91], s[20:21], v[180:181]
	v_fma_f64 v[180:181], v[90:91], s[20:21], -v[180:181]
	v_fma_f64 v[206:207], v[90:91], s[24:25], v[116:117]
	v_fma_f64 v[90:91], v[90:91], s[24:25], -v[116:117]
	v_mul_f64 v[116:117], v[108:109], s[42:43]
	v_mul_f64 v[108:109], v[108:109], s[46:47]
	v_add_f64 v[122:123], v[68:69], v[122:123]
	v_add_f64 v[160:161], v[192:193], v[160:161]
	;; [unrolled: 1-line block ×3, first 2 shown]
	v_mul_f64 v[158:159], v[88:89], s[36:37]
	v_mul_f64 v[192:193], v[84:85], s[38:39]
	v_add_f64 v[104:105], v[104:105], -v[138:139]
	v_add_f64 v[142:143], v[142:143], v[164:165]
	v_add_f64 v[112:113], v[114:115], v[112:113]
	;; [unrolled: 1-line block ×13, first 2 shown]
	v_mul_f64 v[164:165], v[106:107], s[30:31]
	v_mul_f64 v[144:145], v[106:107], s[18:19]
	v_mul_f64 v[148:149], v[106:107], s[26:27]
	v_mul_f64 v[150:151], v[106:107], s[36:37]
	v_mul_f64 v[162:163], v[106:107], s[52:53]
	v_mul_f64 v[168:169], v[106:107], s[50:51]
	v_mul_f64 v[170:171], v[106:107], s[44:45]
	v_mul_f64 v[106:107], v[106:107], s[40:41]
	v_fma_f64 v[186:187], v[82:83], s[16:17], v[182:183]
	v_fma_f64 v[182:183], v[82:83], s[16:17], -v[182:183]
	v_fma_f64 v[188:189], v[82:83], s[2:3], v[184:185]
	v_fma_f64 v[138:139], v[82:83], s[20:21], v[166:167]
	v_fma_f64 v[166:167], v[82:83], s[20:21], -v[166:167]
	v_fma_f64 v[172:173], v[82:83], s[6:7], v[132:133]
	v_fma_f64 v[132:133], v[82:83], s[6:7], -v[132:133]
	v_fma_f64 v[184:185], v[82:83], s[2:3], -v[184:185]
	v_fma_f64 v[190:191], v[82:83], s[24:25], v[102:103]
	v_fma_f64 v[102:103], v[82:83], s[24:25], -v[102:103]
	v_fma_f64 v[194:195], v[82:83], s[10:11], v[116:117]
	v_add_f64 v[122:123], v[64:65], v[122:123]
	v_add_f64 v[140:141], v[140:141], v[160:161]
	;; [unrolled: 1-line block ×3, first 2 shown]
	v_fma_f64 v[116:117], v[82:83], s[10:11], -v[116:117]
	v_fma_f64 v[196:197], v[82:83], s[14:15], v[108:109]
	v_fma_f64 v[82:83], v[82:83], s[14:15], -v[108:109]
	v_add_f64 v[142:143], v[200:201], v[142:143]
	v_add_f64 v[110:111], v[110:111], v[112:113]
	;; [unrolled: 1-line block ×13, first 2 shown]
	v_mul_f64 v[108:109], v[100:101], s[34:35]
	v_mul_f64 v[136:137], v[100:101], s[38:39]
	v_mul_f64 v[146:147], v[100:101], s[36:37]
	v_mul_f64 v[152:153], v[100:101], s[30:31]
	v_mul_f64 v[154:155], v[100:101], s[28:29]
	v_mul_f64 v[156:157], v[100:101], s[26:27]
	v_mul_f64 v[160:161], v[100:101], s[22:23]
	v_mul_f64 v[100:101], v[100:101], s[18:19]
	v_add_f64 v[96:97], v[96:97], -v[164:165]
	v_fma_f64 v[164:165], v[80:81], s[2:3], v[144:145]
	v_fma_f64 v[144:145], v[80:81], s[2:3], -v[144:145]
	v_fma_f64 v[174:175], v[80:81], s[10:11], v[148:149]
	v_fma_f64 v[148:149], v[80:81], s[10:11], -v[148:149]
	;; [unrolled: 2-line block ×5, first 2 shown]
	v_add_f64 v[122:123], v[60:61], v[122:123]
	v_fma_f64 v[198:199], v[80:81], s[16:17], v[170:171]
	v_fma_f64 v[170:171], v[80:81], s[16:17], -v[170:171]
	v_fma_f64 v[200:201], v[80:81], s[6:7], -v[106:107]
	v_fma_f64 v[80:81], v[80:81], s[6:7], v[106:107]
	v_add_f64 v[106:107], v[186:187], v[140:141]
	v_add_f64 v[124:125], v[182:183], v[124:125]
	;; [unrolled: 1-line block ×15, first 2 shown]
	v_mul_f64 v[126:127], v[88:89], s[38:39]
	v_mul_f64 v[130:131], v[88:89], s[28:29]
	;; [unrolled: 1-line block ×5, first 2 shown]
	v_add_f64 v[86:87], v[86:87], -v[108:109]
	v_fma_f64 v[108:109], v[74:75], s[24:25], v[136:137]
	v_fma_f64 v[136:137], v[74:75], s[24:25], -v[136:137]
	v_fma_f64 v[142:143], v[74:75], s[20:21], v[146:147]
	v_fma_f64 v[146:147], v[74:75], s[20:21], -v[146:147]
	;; [unrolled: 2-line block ×6, first 2 shown]
	v_add_f64 v[122:123], v[44:45], v[122:123]
	v_fma_f64 v[186:187], v[74:75], s[2:3], v[100:101]
	v_fma_f64 v[74:75], v[74:75], s[2:3], -v[100:101]
	v_add_f64 v[78:79], v[78:79], -v[158:159]
	v_add_f64 v[76:77], v[76:77], -v[192:193]
	v_add_f64 v[100:101], v[164:165], v[106:107]
	v_add_f64 v[106:107], v[144:145], v[124:125]
	;; [unrolled: 1-line block ×13, first 2 shown]
	v_mul_f64 v[140:141], v[84:85], s[28:29]
	v_add_f64 v[20:21], v[80:81], v[20:21]
	v_mul_f64 v[80:81], v[84:85], s[30:31]
	v_mul_f64 v[144:145], v[84:85], s[36:37]
	;; [unrolled: 1-line block ×4, first 2 shown]
	v_fma_f64 v[162:163], v[72:73], s[24:25], v[126:127]
	v_fma_f64 v[126:127], v[72:73], s[24:25], -v[126:127]
	v_fma_f64 v[164:165], v[72:73], s[12:13], v[130:131]
	v_fma_f64 v[130:131], v[72:73], s[12:13], -v[130:131]
	v_fma_f64 v[168:169], v[72:73], s[6:7], v[132:133]
	v_fma_f64 v[132:133], v[72:73], s[6:7], -v[132:133]
	v_fma_f64 v[174:175], v[72:73], s[2:3], v[138:139]
	v_fma_f64 v[138:139], v[72:73], s[2:3], -v[138:139]
	v_add_f64 v[122:123], v[40:41], v[122:123]
	v_add_f64 v[86:87], v[86:87], v[96:97]
	v_add_f64 v[96:97], v[184:185], v[104:105]
	v_add_f64 v[74:75], v[74:75], v[82:83]
	v_add_f64 v[82:83], v[152:153], v[90:91]
	v_add_f64 v[90:91], v[154:155], v[98:99]
	v_add_f64 v[104:105], v[160:161], v[110:111]
	v_add_f64 v[98:99], v[166:167], v[102:103]
	v_add_f64 v[102:103], v[172:173], v[112:113]
	v_add_f64 v[110:111], v[182:183], v[114:115]
	v_add_f64 v[20:21], v[186:187], v[20:21]
	v_add_f64 v[122:123], v[36:37], v[122:123]
	v_add_f64 v[78:79], v[78:79], v[86:87]
	v_add_f64 v[86:87], v[162:163], v[96:97]
	v_add_f64 v[74:75], v[130:131], v[74:75]
	v_add_f64 v[90:91], v[138:139], v[90:91]
	v_add_f64 v[96:97], v[126:127], v[104:105]
	v_add_f64 v[102:103], v[174:175], v[102:103]
	v_add_f64 v[20:21], v[164:165], v[20:21]
	v_add_f64 v[122:123], v[32:33], v[122:123]
	v_add_f64 v[76:77], v[76:77], v[78:79]
	s_delay_alu instid0(VALU_DEP_2) | instskip(NEXT) | instid1(VALU_DEP_1)
	v_add_f64 v[122:123], v[24:25], v[122:123]
	v_add_f64 v[118:119], v[28:29], v[122:123]
	v_mul_f64 v[122:123], v[88:89], s[26:27]
	v_mul_f64 v[88:89], v[88:89], s[46:47]
	s_delay_alu instid0(VALU_DEP_3)
	v_add_f64 v[116:117], v[16:17], v[118:119]
	v_add_f64 v[118:119], v[170:171], v[120:121]
	v_mul_f64 v[120:121], v[84:85], s[18:19]
	v_mul_f64 v[84:85], v[84:85], s[42:43]
	v_fma_f64 v[158:159], v[72:73], s[10:11], v[122:123]
	v_fma_f64 v[122:123], v[72:73], s[10:11], -v[122:123]
	v_fma_f64 v[170:171], v[72:73], s[16:17], v[134:135]
	v_fma_f64 v[134:135], v[72:73], s[16:17], -v[134:135]
	;; [unrolled: 2-line block ×3, first 2 shown]
	v_add_f64 v[88:89], v[108:109], v[100:101]
	v_add_f64 v[100:101], v[136:137], v[106:107]
	;; [unrolled: 1-line block ×4, first 2 shown]
	v_fma_f64 v[124:125], v[0:1], s[12:13], v[140:141]
	v_fma_f64 v[128:129], v[0:1], s[12:13], -v[140:141]
	v_fma_f64 v[136:137], v[0:1], s[20:21], v[144:145]
	v_fma_f64 v[140:141], v[0:1], s[20:21], -v[144:145]
	;; [unrolled: 2-line block ×4, first 2 shown]
	v_add_f64 v[112:113], v[12:13], v[116:117]
	v_add_f64 v[114:115], v[156:157], v[118:119]
	v_fma_f64 v[116:117], v[0:1], s[14:15], v[80:81]
	v_fma_f64 v[80:81], v[0:1], s[14:15], -v[80:81]
	v_fma_f64 v[118:119], v[0:1], s[2:3], v[120:121]
	v_fma_f64 v[120:121], v[0:1], s[2:3], -v[120:121]
	v_fma_f64 v[150:151], v[0:1], s[10:11], v[84:85]
	v_fma_f64 v[0:1], v[0:1], s[10:11], -v[84:85]
	v_add_f64 v[82:83], v[122:123], v[82:83]
	v_add_f64 v[98:99], v[158:159], v[98:99]
	;; [unrolled: 1-line block ×22, first 2 shown]
	v_mul_u32_u24_e32 v104, 0x88, v92
	s_delay_alu instid0(VALU_DEP_1)
	v_add3_u32 v104, 0, v104, v93
	v_add_f64 v[102:103], v[4:5], v[108:109]
	v_add_f64 v[72:73], v[128:129], v[72:73]
	ds_store_2addr_b64 v104, v[80:81], v[84:85] offset0:8 offset1:9
	ds_store_2addr_b64 v104, v[88:89], v[2:3] offset0:10 offset1:11
	;; [unrolled: 1-line block ×6, first 2 shown]
	ds_store_2addr_b64 v104, v[102:103], v[74:75] offset1:1
	ds_store_2addr_b64 v104, v[0:1], v[72:73] offset0:2 offset1:3
	ds_store_b64 v104, v[20:21] offset:128
.LBB0_13:
	s_or_b32 exec_lo, exec_lo, s1
	v_add_f64 v[118:119], v[48:49], -v[4:5]
	v_add_f64 v[108:109], v[6:7], v[50:51]
	v_add_f64 v[116:117], v[52:53], -v[8:9]
	v_add_f64 v[106:107], v[10:11], v[54:55]
	;; [unrolled: 2-line block ×7, first 2 shown]
	v_add_f64 v[24:25], v[40:41], -v[36:37]
	v_lshlrev_b32_e32 v32, 3, v92
	s_waitcnt lgkmcnt(0)
	s_barrier
	buffer_gl0_inv
	v_add_nc_u32_e32 v126, 0, v32
	v_add3_u32 v121, 0, v93, v32
	s_delay_alu instid0(VALU_DEP_2) | instskip(NEXT) | instid1(VALU_DEP_1)
	v_add_nc_u32_e32 v120, v126, v93
	v_add_nc_u32_e32 v125, 0x800, v120
	v_add_nc_u32_e32 v123, 0xc00, v120
	v_add_nc_u32_e32 v122, 0x1400, v120
	v_add_nc_u32_e32 v124, 0x1800, v120
	v_mul_f64 v[114:115], v[118:119], s[18:19]
	v_mul_f64 v[110:111], v[116:117], s[22:23]
	;; [unrolled: 1-line block ×8, first 2 shown]
	v_fma_f64 v[0:1], v[108:109], s[2:3], -v[114:115]
	v_fma_f64 v[4:5], v[106:107], s[6:7], -v[110:111]
	;; [unrolled: 1-line block ×4, first 2 shown]
	s_delay_alu instid0(VALU_DEP_4) | instskip(NEXT) | instid1(VALU_DEP_1)
	v_add_f64 v[0:1], v[22:23], v[0:1]
	v_add_f64 v[0:1], v[4:5], v[0:1]
	v_fma_f64 v[4:5], v[68:69], s[12:13], -v[96:97]
	s_delay_alu instid0(VALU_DEP_2) | instskip(SKIP_1) | instid1(VALU_DEP_2)
	v_add_f64 v[0:1], v[8:9], v[0:1]
	v_fma_f64 v[8:9], v[56:57], s[14:15], -v[60:61]
	v_add_f64 v[0:1], v[4:5], v[0:1]
	v_add_f64 v[4:5], v[38:39], v[42:43]
	s_delay_alu instid0(VALU_DEP_2) | instskip(SKIP_1) | instid1(VALU_DEP_2)
	v_add_f64 v[0:1], v[8:9], v[0:1]
	v_fma_f64 v[8:9], v[16:17], s[20:21], -v[20:21]
	v_add_f64 v[0:1], v[28:29], v[0:1]
	s_delay_alu instid0(VALU_DEP_4) | instskip(NEXT) | instid1(VALU_DEP_2)
	v_fma_f64 v[28:29], v[4:5], s[24:25], -v[12:13]
	v_add_f64 v[0:1], v[8:9], v[0:1]
	s_delay_alu instid0(VALU_DEP_1)
	v_add_f64 v[8:9], v[28:29], v[0:1]
	ds_load_b64 v[0:1], v121
	ds_load_2addr_b64 v[88:91], v120 offset0:102 offset1:204
	ds_load_2addr_b64 v[84:87], v125 offset0:50 offset1:152
	;; [unrolled: 1-line block ×5, first 2 shown]
	s_waitcnt lgkmcnt(0)
	s_barrier
	buffer_gl0_inv
	s_and_saveexec_b32 s33, s0
	s_cbranch_execz .LBB0_15
; %bb.14:
	v_add_f64 v[28:29], v[50:51], v[22:23]
	v_mul_f64 v[32:33], v[16:17], s[20:21]
	s_mov_b32 s34, 0xeb564b22
	s_mov_b32 s20, 0x923c349f
	v_mul_f64 v[40:41], v[56:57], s[14:15]
	s_mov_b32 s15, 0xbfe58eea
	s_mov_b32 s14, 0x2a9d6da3
	;; [unrolled: 1-line block ×7, first 2 shown]
	v_mul_f64 v[127:128], v[118:119], s[14:15]
	s_mov_b32 s31, 0xbfc7851a
	v_mul_f64 v[129:130], v[118:119], s[34:35]
	v_mul_f64 v[131:132], v[118:119], s[20:21]
	v_mul_f64 v[133:134], v[118:119], s[26:27]
	s_mov_b32 s40, 0x7c9e640b
	v_mul_f64 v[135:136], v[118:119], s[30:31]
	s_mov_b32 s41, 0xbfeca52d
	v_mul_f64 v[50:51], v[68:69], s[12:13]
	s_mov_b32 s0, 0x370991
	s_mov_b32 s12, 0xc61f0d01
	;; [unrolled: 1-line block ×3, first 2 shown]
	v_mul_f64 v[36:37], v[48:49], s[16:17]
	s_mov_b32 s1, 0x3fedd6d0
	s_mov_b32 s13, 0xbfd183b1
	;; [unrolled: 1-line block ×12, first 2 shown]
	v_mul_f64 v[137:138], v[116:117], s[34:35]
	v_add_f64 v[28:29], v[54:55], v[28:29]
	v_mul_f64 v[139:140], v[116:117], s[28:29]
	v_mul_f64 v[141:142], v[116:117], s[30:31]
	;; [unrolled: 1-line block ×5, first 2 shown]
	s_mov_b32 s10, 0x2b2883cd
	s_mov_b32 s11, 0x3fdc86fa
	;; [unrolled: 1-line block ×8, first 2 shown]
	v_mul_f64 v[143:144], v[112:113], s[40:41]
	v_fma_f64 v[155:156], v[108:109], s[12:13], v[131:132]
	v_fma_f64 v[157:158], v[108:109], s[16:17], v[133:134]
	v_fma_f64 v[133:134], v[108:109], s[16:17], -v[133:134]
	v_fma_f64 v[159:160], v[108:109], s[18:19], v[135:136]
	v_fma_f64 v[135:136], v[108:109], s[18:19], -v[135:136]
	v_fma_f64 v[131:132], v[108:109], s[12:13], -v[131:132]
	v_mul_f64 v[145:146], v[112:113], s[28:29]
	v_mul_f64 v[167:168], v[112:113], s[50:51]
	;; [unrolled: 1-line block ×3, first 2 shown]
	s_mov_b32 s43, 0x3fe9895b
	s_mov_b32 s42, s28
	v_mul_f64 v[163:164], v[104:105], s[34:35]
	v_mul_f64 v[165:166], v[104:105], s[30:31]
	;; [unrolled: 1-line block ×3, first 2 shown]
	v_add_f64 v[50:51], v[50:51], v[96:97]
	s_mov_b32 s49, 0x3fefdd0d
	s_mov_b32 s48, s34
	v_add_f64 v[40:41], v[40:41], v[60:61]
	v_add_f64 v[36:37], v[36:37], v[44:45]
	;; [unrolled: 1-line block ×4, first 2 shown]
	v_mul_f64 v[58:59], v[106:107], s[6:7]
	s_mov_b32 s6, 0x3259b75e
	s_mov_b32 s7, 0x3fb79ee6
	v_fma_f64 v[173:174], v[106:107], s[22:23], v[139:140]
	v_fma_f64 v[153:154], v[108:109], s[6:7], v[129:130]
	v_fma_f64 v[129:130], v[108:109], s[6:7], -v[129:130]
	v_fma_f64 v[171:172], v[106:107], s[6:7], v[137:138]
	v_fma_f64 v[137:138], v[106:107], s[6:7], -v[137:138]
	v_fma_f64 v[139:140], v[106:107], s[22:23], -v[139:140]
	v_fma_f64 v[175:176], v[106:107], s[18:19], v[141:142]
	v_fma_f64 v[141:142], v[106:107], s[18:19], -v[141:142]
	v_fma_f64 v[177:178], v[106:107], s[16:17], v[147:148]
	;; [unrolled: 2-line block ×3, first 2 shown]
	v_fma_f64 v[149:150], v[106:107], s[10:11], -v[149:150]
	v_add_f64 v[54:55], v[54:55], v[102:103]
	v_add_f64 v[133:134], v[22:23], v[133:134]
	v_fma_f64 v[102:103], v[100:101], s[10:11], v[143:144]
	v_add_f64 v[135:136], v[22:23], v[135:136]
	v_add_f64 v[131:132], v[22:23], v[131:132]
	v_fma_f64 v[143:144], v[100:101], s[10:11], -v[143:144]
	v_fma_f64 v[187:188], v[100:101], s[22:23], v[145:146]
	v_fma_f64 v[145:146], v[100:101], s[22:23], -v[145:146]
	v_fma_f64 v[193:194], v[100:101], s[18:19], v[167:168]
	;; [unrolled: 2-line block ×4, first 2 shown]
	v_add_f64 v[28:29], v[70:71], v[28:29]
	v_mul_f64 v[70:71], v[108:109], s[2:3]
	s_mov_b32 s2, 0x75d4884
	s_mov_b32 s3, 0x3fe7a5f6
	v_add_f64 v[58:59], v[58:59], v[110:111]
	v_fma_f64 v[151:152], v[108:109], s[2:3], v[127:128]
	v_fma_f64 v[127:128], v[108:109], s[2:3], -v[127:128]
	v_add_f64 v[129:130], v[22:23], v[129:130]
	v_add_f64 v[133:134], v[149:150], v[133:134]
	v_mul_f64 v[149:150], v[98:99], s[46:47]
	v_add_f64 v[131:132], v[147:148], v[131:132]
	v_mul_f64 v[147:148], v[64:65], s[28:29]
	v_add_f64 v[66:67], v[66:67], v[28:29]
	v_mul_f64 v[28:29], v[4:5], s[24:25]
	s_mov_b32 s24, 0x5d8e7cdc
	s_mov_b32 s25, 0xbfd71e95
	;; [unrolled: 1-line block ×3, first 2 shown]
	v_add_f64 v[70:71], v[70:71], v[114:115]
	v_add_f64 v[127:128], v[22:23], v[127:128]
	v_mul_f64 v[183:184], v[104:105], s[36:37]
	v_fma_f64 v[44:45], v[48:49], s[22:23], v[147:148]
	v_fma_f64 v[147:148], v[48:49], s[22:23], -v[147:148]
	v_add_f64 v[62:63], v[62:63], v[66:67]
	v_mul_f64 v[66:67], v[118:119], s[24:25]
	v_mul_f64 v[118:119], v[118:119], s[40:41]
	v_add_f64 v[12:13], v[28:29], v[12:13]
	v_add_f64 v[70:71], v[22:23], v[70:71]
	v_add_f64 v[46:47], v[46:47], v[62:63]
	v_mul_f64 v[62:63], v[116:117], s[14:15]
	v_mul_f64 v[116:117], v[116:117], s[36:37]
	v_fma_f64 v[114:115], v[108:109], s[0:1], v[66:67]
	v_fma_f64 v[161:162], v[108:109], s[10:11], -v[118:119]
	v_fma_f64 v[118:119], v[108:109], s[10:11], v[118:119]
	s_mov_b32 s15, 0x3fe58eea
	v_add_f64 v[58:59], v[58:59], v[70:71]
	v_add_f64 v[42:43], v[42:43], v[46:47]
	v_fma_f64 v[46:47], v[108:109], s[0:1], -v[66:67]
	v_mul_f64 v[66:67], v[112:113], s[34:35]
	v_mul_f64 v[108:109], v[112:113], s[26:27]
	v_mul_f64 v[112:113], v[112:113], s[14:15]
	v_fma_f64 v[110:111], v[106:107], s[2:3], v[62:63]
	v_fma_f64 v[62:63], v[106:107], s[2:3], -v[62:63]
	v_fma_f64 v[181:182], v[106:107], s[0:1], v[116:117]
	v_fma_f64 v[106:107], v[106:107], s[0:1], -v[116:117]
	v_add_f64 v[114:115], v[22:23], v[114:115]
	v_add_f64 v[116:117], v[22:23], v[151:152]
	;; [unrolled: 1-line block ×8, first 2 shown]
	v_mul_f64 v[161:162], v[104:105], s[44:45]
	v_add_f64 v[54:55], v[54:55], v[58:59]
	v_add_f64 v[38:39], v[38:39], v[42:43]
	;; [unrolled: 1-line block ×3, first 2 shown]
	v_mul_f64 v[42:43], v[104:105], s[40:41]
	v_mul_f64 v[104:105], v[104:105], s[14:15]
	v_fma_f64 v[189:190], v[100:101], s[6:7], v[66:67]
	v_fma_f64 v[66:67], v[100:101], s[6:7], -v[66:67]
	v_fma_f64 v[191:192], v[100:101], s[16:17], v[108:109]
	v_fma_f64 v[108:109], v[100:101], s[16:17], -v[108:109]
	;; [unrolled: 2-line block ×3, first 2 shown]
	v_add_f64 v[70:71], v[110:111], v[114:115]
	v_add_f64 v[110:111], v[171:172], v[116:117]
	;; [unrolled: 1-line block ×11, first 2 shown]
	v_mul_f64 v[46:47], v[98:99], s[20:21]
	v_fma_f64 v[151:152], v[68:69], s[6:7], -v[163:164]
	v_fma_f64 v[153:154], v[68:69], s[18:19], v[165:166]
	v_fma_f64 v[155:156], v[68:69], s[18:19], -v[165:166]
	v_fma_f64 v[159:160], v[68:69], s[12:13], v[161:162]
	;; [unrolled: 2-line block ×4, first 2 shown]
	v_fma_f64 v[173:174], v[68:69], s[22:23], -v[185:186]
	v_mul_f64 v[139:140], v[98:99], s[24:25]
	v_mul_f64 v[141:142], v[98:99], s[28:29]
	v_add_f64 v[50:51], v[50:51], v[54:55]
	v_add_f64 v[34:35], v[34:35], v[38:39]
	;; [unrolled: 1-line block ×3, first 2 shown]
	v_mul_f64 v[38:39], v[98:99], s[40:41]
	v_mul_f64 v[62:63], v[98:99], s[30:31]
	v_fma_f64 v[157:158], v[68:69], s[10:11], v[42:43]
	v_fma_f64 v[42:43], v[68:69], s[10:11], -v[42:43]
	v_fma_f64 v[175:176], v[68:69], s[2:3], v[104:105]
	v_fma_f64 v[68:69], v[68:69], s[2:3], -v[104:105]
	v_mul_f64 v[98:99], v[98:99], s[14:15]
	v_add_f64 v[66:67], v[66:67], v[133:134]
	v_add_f64 v[58:59], v[102:103], v[70:71]
	;; [unrolled: 1-line block ×13, first 2 shown]
	v_mul_f64 v[127:128], v[64:65], s[26:27]
	v_mul_f64 v[129:130], v[64:65], s[30:31]
	;; [unrolled: 1-line block ×4, first 2 shown]
	v_fma_f64 v[60:61], v[56:57], s[12:13], v[46:47]
	v_fma_f64 v[167:168], v[56:57], s[16:17], v[149:150]
	v_fma_f64 v[149:150], v[56:57], s[16:17], -v[149:150]
	v_fma_f64 v[46:47], v[56:57], s[12:13], -v[46:47]
	v_fma_f64 v[145:146], v[56:57], s[22:23], v[141:142]
	v_fma_f64 v[141:142], v[56:57], s[22:23], -v[141:142]
	v_add_f64 v[40:41], v[40:41], v[50:51]
	v_add_f64 v[26:27], v[26:27], v[34:35]
	;; [unrolled: 1-line block ×3, first 2 shown]
	v_mul_f64 v[34:35], v[64:65], s[24:25]
	v_mul_f64 v[64:65], v[64:65], s[38:39]
	v_fma_f64 v[135:136], v[56:57], s[10:11], v[38:39]
	v_fma_f64 v[137:138], v[56:57], s[18:19], v[62:63]
	;; [unrolled: 1-line block ×3, first 2 shown]
	v_fma_f64 v[38:39], v[56:57], s[10:11], -v[38:39]
	v_fma_f64 v[62:63], v[56:57], s[18:19], -v[62:63]
	;; [unrolled: 1-line block ×3, first 2 shown]
	v_add_f64 v[54:55], v[96:97], v[58:59]
	v_add_f64 v[58:59], v[153:154], v[70:71]
	;; [unrolled: 1-line block ×5, first 2 shown]
	v_fma_f64 v[169:170], v[56:57], s[2:3], v[98:99]
	v_add_f64 v[104:105], v[171:172], v[114:115]
	v_fma_f64 v[56:57], v[56:57], s[2:3], -v[98:99]
	v_add_f64 v[98:99], v[165:166], v[110:111]
	v_add_f64 v[110:111], v[175:176], v[116:117]
	;; [unrolled: 1-line block ×7, first 2 shown]
	v_mul_f64 v[108:109], v[52:53], s[34:35]
	v_mul_f64 v[112:113], v[52:53], s[24:25]
	;; [unrolled: 1-line block ×5, first 2 shown]
	v_fma_f64 v[153:154], v[48:49], s[16:17], v[127:128]
	v_fma_f64 v[127:128], v[48:49], s[16:17], -v[127:128]
	v_fma_f64 v[155:156], v[48:49], s[18:19], v[129:130]
	v_fma_f64 v[129:130], v[48:49], s[18:19], -v[129:130]
	;; [unrolled: 2-line block ×4, first 2 shown]
	v_add_f64 v[26:27], v[30:31], v[26:27]
	v_add_f64 v[22:23], v[151:152], v[22:23]
	v_mul_f64 v[30:31], v[52:53], s[26:27]
	v_mul_f64 v[52:53], v[52:53], s[14:15]
	v_fma_f64 v[151:152], v[48:49], s[0:1], v[34:35]
	v_fma_f64 v[34:35], v[48:49], s[0:1], -v[34:35]
	v_fma_f64 v[161:162], v[48:49], s[10:11], v[64:65]
	v_fma_f64 v[48:49], v[48:49], s[10:11], -v[64:65]
	v_add_f64 v[36:37], v[36:37], v[40:41]
	v_add_f64 v[50:51], v[60:61], v[54:55]
	v_add_f64 v[54:55], v[167:168], v[58:59]
	v_add_f64 v[58:59], v[149:150], v[70:71]
	v_add_f64 v[60:61], v[135:136], v[96:97]
	v_add_f64 v[64:65], v[137:138], v[102:103]
	v_mul_f64 v[102:103], v[24:25], s[36:37]
	v_add_f64 v[70:71], v[143:144], v[104:105]
	v_mul_f64 v[104:105], v[24:25], s[14:15]
	v_add_f64 v[38:39], v[38:39], v[98:99]
	v_add_f64 v[96:97], v[145:146], v[110:111]
	v_add_f64 v[68:69], v[141:142], v[68:69]
	v_add_f64 v[66:67], v[139:140], v[66:67]
	v_add_f64 v[42:43], v[62:63], v[42:43]
	v_add_f64 v[56:57], v[56:57], v[100:101]
	v_add_f64 v[62:63], v[169:170], v[106:107]
	v_mul_f64 v[98:99], v[24:25], s[28:29]
	v_mul_f64 v[100:101], v[24:25], s[20:21]
	v_fma_f64 v[106:107], v[16:17], s[6:7], v[108:109]
	v_fma_f64 v[108:109], v[16:17], s[6:7], -v[108:109]
	v_fma_f64 v[110:111], v[16:17], s[0:1], v[112:113]
	v_fma_f64 v[112:113], v[16:17], s[0:1], -v[112:113]
	;; [unrolled: 2-line block ×5, first 2 shown]
	v_add_f64 v[18:19], v[18:19], v[26:27]
	v_add_f64 v[22:23], v[46:47], v[22:23]
	v_mul_f64 v[26:27], v[24:25], s[30:31]
	v_mul_f64 v[46:47], v[24:25], s[26:27]
	v_mul_f64 v[24:25], v[24:25], s[48:49]
	v_fma_f64 v[32:33], v[16:17], s[16:17], v[30:31]
	v_fma_f64 v[30:31], v[16:17], s[16:17], -v[30:31]
	v_fma_f64 v[141:142], v[16:17], s[2:3], v[52:53]
	v_fma_f64 v[16:17], v[16:17], s[2:3], -v[52:53]
	v_add_f64 v[20:21], v[20:21], v[36:37]
	v_add_f64 v[40:41], v[44:45], v[50:51]
	;; [unrolled: 1-line block ×14, first 2 shown]
	v_fma_f64 v[62:63], v[4:5], s[22:23], v[98:99]
	v_fma_f64 v[66:67], v[4:5], s[22:23], -v[98:99]
	v_fma_f64 v[68:69], v[4:5], s[12:13], v[100:101]
	v_fma_f64 v[70:71], v[4:5], s[12:13], -v[100:101]
	;; [unrolled: 2-line block ×4, first 2 shown]
	v_add_f64 v[14:15], v[14:15], v[18:19]
	v_add_f64 v[18:19], v[147:148], v[22:23]
	v_fma_f64 v[22:23], v[4:5], s[18:19], v[26:27]
	v_fma_f64 v[26:27], v[4:5], s[18:19], -v[26:27]
	v_fma_f64 v[28:29], v[4:5], s[16:17], v[46:47]
	v_fma_f64 v[46:47], v[4:5], s[16:17], -v[46:47]
	;; [unrolled: 2-line block ×3, first 2 shown]
	v_add_f64 v[12:13], v[12:13], v[20:21]
	v_add_f64 v[24:25], v[32:33], v[40:41]
	;; [unrolled: 1-line block ×31, first 2 shown]
	v_lshlrev_b32_e32 v14, 7, v92
	s_delay_alu instid0(VALU_DEP_1)
	v_add3_u32 v14, v126, v14, v93
	ds_store_2addr_b64 v14, v[24:25], v[32:33] offset0:4 offset1:5
	ds_store_2addr_b64 v14, v[12:13], v[36:37] offset0:6 offset1:7
	;; [unrolled: 1-line block ×7, first 2 shown]
	ds_store_2addr_b64 v14, v[6:7], v[18:19] offset1:1
	ds_store_b64 v14, v[10:11] offset:128
.LBB0_15:
	s_or_b32 exec_lo, exec_lo, s33
	v_and_b32_e32 v4, 0xff, v92
	s_waitcnt lgkmcnt(0)
	s_barrier
	buffer_gl0_inv
	s_mov_b32 s2, 0xf8bb580b
	v_mul_lo_u16 v4, 0xf1, v4
	s_mov_b32 s34, 0x8eee2c13
	s_mov_b32 s16, 0x43842ef
	;; [unrolled: 1-line block ×4, first 2 shown]
	v_lshrrev_b16 v18, 12, v4
	s_mov_b32 s17, 0xbfefac9e
	s_mov_b32 s18, 0xbb3a28a1
	;; [unrolled: 1-line block ×4, first 2 shown]
	v_mul_lo_u16 v4, v18, 17
	s_mov_b32 s21, 0xbfd207e7
	s_mov_b32 s12, 0x8764f0ba
	;; [unrolled: 1-line block ×4, first 2 shown]
	v_sub_nc_u16 v4, v92, v4
	s_mov_b32 s13, 0x3feaeb8c
	s_mov_b32 s11, 0x3fda9628
	;; [unrolled: 1-line block ×4, first 2 shown]
	v_and_b32_e32 v19, 0xff, v4
	s_mov_b32 s31, 0x3fd207e7
	s_mov_b32 s29, 0x3fefac9e
	;; [unrolled: 1-line block ×4, first 2 shown]
	v_mul_u32_u24_e32 v4, 10, v19
	s_mov_b32 s28, s16
	s_mov_b32 s24, s2
	;; [unrolled: 1-line block ×4, first 2 shown]
	v_lshlrev_b32_e32 v28, 4, v4
	s_mov_b32 s23, 0xbfeeb42a
	s_mov_b32 s27, 0x3fed1bb4
	;; [unrolled: 1-line block ×3, first 2 shown]
	v_and_b32_e32 v18, 0xffff, v18
	s_clause 0x9
	global_load_b128 v[4:7], v28, s[4:5]
	global_load_b128 v[10:13], v28, s[4:5] offset:16
	global_load_b128 v[14:17], v28, s[4:5] offset:144
	;; [unrolled: 1-line block ×9, first 2 shown]
	ds_load_2addr_b64 v[30:33], v120 offset0:102 offset1:204
	ds_load_2addr_b64 v[60:63], v125 offset0:50 offset1:152
	;; [unrolled: 1-line block ×3, first 2 shown]
	v_mad_u32_u24 v18, 0x5d8, v18, 0
	v_lshlrev_b32_e32 v19, 3, v19
	v_cmp_gt_u32_e64 s0, 0x55, v92
	s_waitcnt vmcnt(9) lgkmcnt(2)
	v_mul_f64 v[28:29], v[30:31], v[6:7]
	s_waitcnt vmcnt(8)
	v_mul_f64 v[34:35], v[32:33], v[12:13]
	v_mul_f64 v[6:7], v[88:89], v[6:7]
	s_waitcnt vmcnt(6) lgkmcnt(1)
	v_mul_f64 v[42:43], v[60:61], v[22:23]
	v_mul_f64 v[12:13], v[90:91], v[12:13]
	s_waitcnt vmcnt(5)
	v_mul_f64 v[96:97], v[80:81], v[26:27]
	v_mul_f64 v[22:23], v[84:85], v[22:23]
	v_fma_f64 v[44:45], v[88:89], v[4:5], -v[28:29]
	v_mul_f64 v[28:29], v[82:83], v[16:17]
	v_fma_f64 v[40:41], v[90:91], v[10:11], -v[34:35]
	s_waitcnt lgkmcnt(0)
	v_mul_f64 v[16:17], v[54:55], v[16:17]
	v_fma_f64 v[46:47], v[30:31], v[4:5], v[6:7]
	v_fma_f64 v[30:31], v[84:85], v[20:21], -v[42:43]
	ds_load_2addr_b64 v[88:91], v123 offset0:126 offset1:228
	s_waitcnt vmcnt(3)
	v_mul_f64 v[42:43], v[74:75], v[50:51]
	v_mul_f64 v[84:85], v[52:53], v[26:27]
	v_fma_f64 v[32:33], v[32:33], v[10:11], v[12:13]
	v_fma_f64 v[6:7], v[52:53], v[24:25], v[96:97]
	ds_load_2addr_b64 v[10:13], v122 offset0:74 offset1:176
	s_waitcnt lgkmcnt(0)
	v_mul_f64 v[96:97], v[12:13], v[50:51]
	v_add_f64 v[34:35], v[0:1], v[44:45]
	v_fma_f64 v[4:5], v[54:55], v[14:15], v[28:29]
	v_mul_f64 v[28:29], v[62:63], v[38:39]
	v_fma_f64 v[54:55], v[82:83], v[14:15], -v[16:17]
	s_waitcnt vmcnt(2)
	v_mul_f64 v[16:17], v[88:89], v[58:59]
	v_mul_f64 v[82:83], v[86:87], v[38:39]
	;; [unrolled: 1-line block ×3, first 2 shown]
	v_fma_f64 v[26:27], v[12:13], v[48:49], v[42:43]
	v_fma_f64 v[50:51], v[80:81], v[24:25], -v[84:85]
	v_add_f64 v[12:13], v[32:33], -v[6:7]
	v_add_f64 v[34:35], v[34:35], v[40:41]
	v_add_f64 v[14:15], v[46:47], -v[4:5]
	v_fma_f64 v[28:29], v[86:87], v[36:37], -v[28:29]
	s_waitcnt vmcnt(1)
	v_mul_f64 v[86:87], v[72:73], v[66:67]
	v_fma_f64 v[38:39], v[76:77], v[56:57], -v[16:17]
	v_mul_f64 v[66:67], v[10:11], v[66:67]
	v_fma_f64 v[56:57], v[88:89], v[56:57], v[58:59]
	v_mul_f64 v[76:77], v[12:13], s[18:19]
	v_add_f64 v[52:53], v[34:35], v[30:31]
	v_fma_f64 v[34:35], v[60:61], v[20:21], v[22:23]
	s_waitcnt vmcnt(0)
	v_mul_f64 v[20:21], v[90:91], v[70:71]
	v_add_f64 v[22:23], v[44:45], v[54:55]
	v_mul_f64 v[24:25], v[14:15], s[2:3]
	v_mul_f64 v[42:43], v[14:15], s[34:35]
	;; [unrolled: 1-line block ×6, first 2 shown]
	v_add_f64 v[16:17], v[52:53], v[28:29]
	v_fma_f64 v[52:53], v[62:63], v[36:37], v[82:83]
	v_fma_f64 v[62:63], v[74:75], v[48:49], -v[96:97]
	v_fma_f64 v[36:37], v[10:11], v[64:65], v[86:87]
	v_add_f64 v[10:11], v[34:35], -v[26:27]
	v_add_f64 v[48:49], v[40:41], v[50:51]
	v_mul_f64 v[74:75], v[12:13], s[34:35]
	v_mul_f64 v[82:83], v[12:13], s[30:31]
	;; [unrolled: 1-line block ×4, first 2 shown]
	v_fma_f64 v[60:61], v[78:79], v[68:69], -v[20:21]
	v_fma_f64 v[20:21], v[22:23], s[12:13], -v[24:25]
	;; [unrolled: 1-line block ×3, first 2 shown]
	v_fma_f64 v[42:43], v[22:23], s[10:11], v[42:43]
	v_fma_f64 v[96:97], v[22:23], s[6:7], -v[80:81]
	v_fma_f64 v[98:99], v[22:23], s[14:15], -v[84:85]
	v_fma_f64 v[84:85], v[22:23], s[14:15], v[84:85]
	v_fma_f64 v[100:101], v[22:23], s[22:23], -v[14:15]
	v_fma_f64 v[14:15], v[22:23], s[22:23], v[14:15]
	v_fma_f64 v[80:81], v[22:23], s[6:7], v[80:81]
	v_fma_f64 v[22:23], v[22:23], s[12:13], v[24:25]
	v_fma_f64 v[58:59], v[90:91], v[68:69], v[70:71]
	v_fma_f64 v[64:65], v[72:73], v[64:65], -v[66:67]
	v_add_f64 v[16:17], v[16:17], v[38:39]
	v_add_f64 v[24:25], v[30:31], v[62:63]
	v_add_f64 v[66:67], v[52:53], -v[36:37]
	v_mul_f64 v[68:69], v[10:11], s[16:17]
	v_mul_f64 v[70:71], v[10:11], s[30:31]
	;; [unrolled: 1-line block ×5, first 2 shown]
	v_fma_f64 v[90:91], v[48:49], s[10:11], -v[74:75]
	v_fma_f64 v[74:75], v[48:49], s[10:11], v[74:75]
	v_fma_f64 v[102:103], v[48:49], s[14:15], -v[76:77]
	v_fma_f64 v[76:77], v[48:49], s[14:15], v[76:77]
	;; [unrolled: 2-line block ×5, first 2 shown]
	v_add_f64 v[20:21], v[0:1], v[20:21]
	v_add_f64 v[48:49], v[0:1], v[78:79]
	v_add_f64 v[42:43], v[0:1], v[42:43]
	v_add_f64 v[78:79], v[0:1], v[96:97]
	v_add_f64 v[96:97], v[0:1], v[98:99]
	v_add_f64 v[84:85], v[0:1], v[84:85]
	v_add_f64 v[98:99], v[0:1], v[100:101]
	v_add_f64 v[14:15], v[0:1], v[14:15]
	v_add_f64 v[80:81], v[0:1], v[80:81]
	v_add_f64 v[0:1], v[0:1], v[22:23]
	v_add_f64 v[22:23], v[28:29], v[64:65]
	v_add_f64 v[100:101], v[56:57], -v[58:59]
	v_add_f64 v[16:17], v[16:17], v[60:61]
	v_mul_f64 v[110:111], v[66:67], s[18:19]
	v_mul_f64 v[112:113], v[66:67], s[28:29]
	;; [unrolled: 1-line block ×3, first 2 shown]
	v_fma_f64 v[118:119], v[24:25], s[6:7], -v[68:69]
	v_fma_f64 v[68:69], v[24:25], s[6:7], v[68:69]
	v_fma_f64 v[122:123], v[24:25], s[22:23], -v[70:71]
	v_fma_f64 v[70:71], v[24:25], s[22:23], v[70:71]
	;; [unrolled: 2-line block ×5, first 2 shown]
	v_mul_f64 v[116:117], v[66:67], s[20:21]
	v_mul_f64 v[66:67], v[66:67], s[26:27]
	v_add_f64 v[20:21], v[90:91], v[20:21]
	v_add_f64 v[24:25], v[102:103], v[48:49]
	;; [unrolled: 1-line block ×11, first 2 shown]
	v_mul_f64 v[80:81], v[100:101], s[20:21]
	v_mul_f64 v[82:83], v[100:101], s[24:25]
	;; [unrolled: 1-line block ×5, first 2 shown]
	v_add_f64 v[16:17], v[16:17], v[64:65]
	v_fma_f64 v[98:99], v[22:23], s[14:15], -v[110:111]
	v_fma_f64 v[102:103], v[22:23], s[6:7], -v[112:113]
	v_fma_f64 v[104:105], v[22:23], s[6:7], v[112:113]
	v_fma_f64 v[106:107], v[22:23], s[12:13], -v[114:115]
	v_fma_f64 v[100:101], v[22:23], s[14:15], v[110:111]
	v_fma_f64 v[108:109], v[22:23], s[12:13], v[114:115]
	v_fma_f64 v[110:111], v[22:23], s[22:23], -v[116:117]
	v_fma_f64 v[112:113], v[22:23], s[22:23], v[116:117]
	v_fma_f64 v[114:115], v[22:23], s[10:11], -v[66:67]
	v_add_f64 v[20:21], v[118:119], v[20:21]
	v_add_f64 v[24:25], v[122:123], v[24:25]
	;; [unrolled: 1-line block ×4, first 2 shown]
	v_fma_f64 v[22:23], v[22:23], s[10:11], v[66:67]
	v_add_f64 v[66:67], v[126:127], v[76:77]
	v_add_f64 v[70:71], v[88:89], v[78:79]
	;; [unrolled: 1-line block ×6, first 2 shown]
	v_fma_f64 v[68:69], v[74:75], s[22:23], v[80:81]
	v_fma_f64 v[72:73], v[74:75], s[12:13], -v[82:83]
	v_fma_f64 v[78:79], v[74:75], s[12:13], v[82:83]
	v_fma_f64 v[82:83], v[74:75], s[14:15], v[86:87]
	v_fma_f64 v[84:85], v[74:75], s[10:11], -v[90:91]
	v_fma_f64 v[88:89], v[74:75], s[6:7], -v[96:97]
	v_add_f64 v[14:15], v[16:17], v[62:63]
	v_fma_f64 v[16:17], v[74:75], s[22:23], -v[80:81]
	v_fma_f64 v[80:81], v[74:75], s[14:15], -v[86:87]
	v_fma_f64 v[86:87], v[74:75], s[10:11], v[90:91]
	v_fma_f64 v[74:75], v[74:75], s[6:7], v[96:97]
	v_add_f64 v[20:21], v[98:99], v[20:21]
	v_add_f64 v[24:25], v[102:103], v[24:25]
	;; [unrolled: 1-line block ×21, first 2 shown]
	v_add_nc_u32_e32 v68, 0x400, v120
	v_add3_u32 v70, v18, v19, v93
	v_add_nc_u32_e32 v69, 0x1000, v120
	ds_load_b64 v[66:67], v121
	s_waitcnt lgkmcnt(0)
	s_barrier
	buffer_gl0_inv
	v_add_f64 v[22:23], v[90:91], v[54:55]
	ds_store_2addr_b64 v70, v[24:25], v[42:43] offset0:34 offset1:51
	ds_store_2addr_b64 v70, v[48:49], v[71:72] offset0:68 offset1:85
	ds_store_2addr_b64 v70, v[10:11], v[12:13] offset0:102 offset1:119
	ds_store_2addr_b64 v70, v[14:15], v[16:17] offset0:136 offset1:153
	ds_store_b64 v70, v[0:1] offset:1360
	ds_store_2addr_b64 v70, v[22:23], v[20:21] offset1:17
	s_waitcnt lgkmcnt(0)
	s_barrier
	buffer_gl0_inv
	ds_load_2addr_b64 v[22:25], v68 offset0:59 offset1:246
	ds_load_2addr_b64 v[18:21], v69 offset0:49 offset1:236
	ds_load_b64 v[42:43], v121
	ds_load_b64 v[48:49], v120 offset:7480
	s_and_saveexec_b32 s1, s0
	s_cbranch_execz .LBB0_17
; %bb.16:
	v_add_nc_u32_e32 v0, 0x200, v120
	v_add_nc_u32_e32 v1, 0xe00, v120
	;; [unrolled: 1-line block ×3, first 2 shown]
	ds_load_2addr_b64 v[10:13], v0 offset0:38 offset1:225
	ds_load_2addr_b64 v[14:17], v1 offset0:28 offset1:215
	;; [unrolled: 1-line block ×3, first 2 shown]
.LBB0_17:
	s_or_b32 exec_lo, exec_lo, s1
	v_add_f64 v[71:72], v[66:67], v[46:47]
	v_add_f64 v[44:45], v[44:45], -v[54:55]
	v_add_f64 v[40:41], v[40:41], -v[50:51]
	v_add_f64 v[46:47], v[46:47], v[4:5]
	v_add_f64 v[30:31], v[30:31], -v[62:63]
	v_add_f64 v[28:29], v[28:29], -v[64:65]
	v_add_f64 v[38:39], v[38:39], -v[60:61]
	s_waitcnt lgkmcnt(0)
	s_barrier
	buffer_gl0_inv
	v_add_f64 v[71:72], v[71:72], v[32:33]
	v_mul_f64 v[50:51], v[44:45], s[2:3]
	v_mul_f64 v[73:74], v[44:45], s[16:17]
	;; [unrolled: 1-line block ×3, first 2 shown]
	v_add_f64 v[32:33], v[32:33], v[6:7]
	v_mul_f64 v[62:63], v[40:41], s[34:35]
	v_mul_f64 v[77:78], v[40:41], s[18:19]
	;; [unrolled: 1-line block ×10, first 2 shown]
	v_add_f64 v[54:55], v[71:72], v[34:35]
	v_mul_f64 v[71:72], v[44:45], s[34:35]
	v_mul_f64 v[44:45], v[44:45], s[20:21]
	v_fma_f64 v[83:84], v[46:47], s[12:13], v[50:51]
	v_fma_f64 v[87:88], v[46:47], s[6:7], v[73:74]
	;; [unrolled: 1-line block ×3, first 2 shown]
	v_fma_f64 v[75:76], v[46:47], s[14:15], -v[75:76]
	v_fma_f64 v[73:74], v[46:47], s[6:7], -v[73:74]
	v_add_f64 v[34:35], v[34:35], v[26:27]
	v_fma_f64 v[102:103], v[32:33], s[10:11], v[62:63]
	v_fma_f64 v[62:63], v[32:33], s[10:11], -v[62:63]
	v_fma_f64 v[104:105], v[32:33], s[14:15], v[77:78]
	v_fma_f64 v[77:78], v[32:33], s[14:15], -v[77:78]
	;; [unrolled: 2-line block ×5, first 2 shown]
	v_add_f64 v[54:55], v[54:55], v[52:53]
	v_fma_f64 v[85:86], v[46:47], s[10:11], v[71:72]
	v_fma_f64 v[71:72], v[46:47], s[10:11], -v[71:72]
	v_fma_f64 v[96:97], v[46:47], s[22:23], v[44:45]
	v_fma_f64 v[44:45], v[46:47], s[22:23], -v[44:45]
	v_fma_f64 v[46:47], v[46:47], s[12:13], -v[50:51]
	v_add_f64 v[40:41], v[66:67], v[83:84]
	v_add_f64 v[75:76], v[66:67], v[75:76]
	;; [unrolled: 1-line block ×4, first 2 shown]
	v_fma_f64 v[116:117], v[34:35], s[22:23], v[64:65]
	v_fma_f64 v[64:65], v[34:35], s[22:23], -v[64:65]
	v_fma_f64 v[118:119], v[34:35], s[10:11], v[98:99]
	v_fma_f64 v[98:99], v[34:35], s[10:11], -v[98:99]
	;; [unrolled: 2-line block ×3, first 2 shown]
	v_add_f64 v[50:51], v[54:55], v[56:57]
	v_mul_f64 v[54:55], v[30:31], s[16:17]
	v_mul_f64 v[30:31], v[30:31], s[18:19]
	v_add_f64 v[83:84], v[66:67], v[85:86]
	v_add_f64 v[71:72], v[66:67], v[71:72]
	;; [unrolled: 1-line block ×7, first 2 shown]
	v_mul_f64 v[66:67], v[28:29], s[28:29]
	v_mul_f64 v[96:97], v[28:29], s[2:3]
	;; [unrolled: 1-line block ×3, first 2 shown]
	v_add_f64 v[75:76], v[81:82], v[75:76]
	v_add_f64 v[50:51], v[50:51], v[58:59]
	v_fma_f64 v[114:115], v[34:35], s[6:7], v[54:55]
	v_fma_f64 v[54:55], v[34:35], s[6:7], -v[54:55]
	v_fma_f64 v[124:125], v[34:35], s[14:15], v[30:31]
	v_fma_f64 v[30:31], v[34:35], s[14:15], -v[30:31]
	v_add_f64 v[34:35], v[102:103], v[40:41]
	v_add_f64 v[40:41], v[104:105], v[83:84]
	;; [unrolled: 1-line block ×9, first 2 shown]
	v_mul_f64 v[62:63], v[38:39], s[18:19]
	v_mul_f64 v[73:74], v[38:39], s[26:27]
	v_fma_f64 v[79:80], v[52:53], s[14:15], v[60:61]
	v_fma_f64 v[60:61], v[52:53], s[14:15], -v[60:61]
	v_fma_f64 v[85:86], v[52:53], s[6:7], v[66:67]
	v_fma_f64 v[66:67], v[52:53], s[6:7], -v[66:67]
	;; [unrolled: 2-line block ×5, first 2 shown]
	v_add_f64 v[75:76], v[100:101], v[75:76]
	v_add_f64 v[36:37], v[50:51], v[36:37]
	v_add_f64 v[50:51], v[56:57], v[58:59]
	v_mul_f64 v[56:57], v[38:39], s[20:21]
	v_mul_f64 v[58:59], v[38:39], s[24:25]
	;; [unrolled: 1-line block ×3, first 2 shown]
	v_add_f64 v[34:35], v[114:115], v[34:35]
	v_add_f64 v[40:41], v[116:117], v[40:41]
	;; [unrolled: 1-line block ×10, first 2 shown]
	v_fma_f64 v[81:82], v[50:51], s[10:11], v[73:74]
	v_fma_f64 v[36:37], v[50:51], s[22:23], v[56:57]
	v_fma_f64 v[46:47], v[50:51], s[22:23], -v[56:57]
	v_fma_f64 v[54:55], v[50:51], s[12:13], v[58:59]
	v_fma_f64 v[56:57], v[50:51], s[12:13], -v[58:59]
	;; [unrolled: 2-line block ×3, first 2 shown]
	v_fma_f64 v[73:74], v[50:51], s[10:11], -v[73:74]
	v_fma_f64 v[83:84], v[50:51], s[6:7], v[38:39]
	v_fma_f64 v[38:39], v[50:51], s[6:7], -v[38:39]
	v_add_f64 v[34:35], v[79:80], v[34:35]
	v_add_f64 v[40:41], v[85:86], v[40:41]
	;; [unrolled: 1-line block ×22, first 2 shown]
	ds_store_2addr_b64 v70, v[36:37], v[40:41] offset0:34 offset1:51
	ds_store_2addr_b64 v70, v[50:51], v[52:53] offset0:68 offset1:85
	;; [unrolled: 1-line block ×4, first 2 shown]
	ds_store_b64 v70, v[6:7] offset:1360
	ds_store_2addr_b64 v70, v[4:5], v[34:35] offset1:17
	s_waitcnt lgkmcnt(0)
	s_barrier
	buffer_gl0_inv
	ds_load_2addr_b64 v[34:37], v68 offset0:59 offset1:246
	ds_load_2addr_b64 v[38:41], v69 offset0:49 offset1:236
	ds_load_b64 v[4:5], v121
	ds_load_b64 v[44:45], v120 offset:7480
	s_and_saveexec_b32 s1, s0
	s_cbranch_execz .LBB0_19
; %bb.18:
	v_add_nc_u32_e32 v6, 0x200, v120
	v_add_nc_u32_e32 v7, 0xe00, v120
	;; [unrolled: 1-line block ×3, first 2 shown]
	ds_load_2addr_b64 v[26:29], v6 offset0:38 offset1:225
	ds_load_2addr_b64 v[30:33], v7 offset0:28 offset1:215
	;; [unrolled: 1-line block ×3, first 2 shown]
.LBB0_19:
	s_or_b32 exec_lo, exec_lo, s1
	s_and_saveexec_b32 s1, vcc_lo
	s_cbranch_execz .LBB0_22
; %bb.20:
	v_mul_u32_u24_e32 v46, 5, v92
	s_mov_b32 s2, 0xe8584caa
	s_mov_b32 s3, 0x3febb67a
	;; [unrolled: 1-line block ×4, first 2 shown]
	v_dual_mov_b32 v93, 0 :: v_dual_lshlrev_b32 v46, 4, v46
	s_clause 0x4
	global_load_b128 v[50:53], v46, s[4:5] offset:2752
	global_load_b128 v[54:57], v46, s[4:5] offset:2784
	;; [unrolled: 1-line block ×5, first 2 shown]
	s_waitcnt vmcnt(4)
	v_mul_f64 v[46:47], v[18:19], v[52:53]
	s_waitcnt vmcnt(3)
	v_mul_f64 v[70:71], v[48:49], v[56:57]
	s_waitcnt lgkmcnt(2)
	v_mul_f64 v[52:53], v[38:39], v[52:53]
	s_waitcnt lgkmcnt(0)
	v_mul_f64 v[56:57], v[44:45], v[56:57]
	s_waitcnt vmcnt(2)
	v_mul_f64 v[72:73], v[34:35], v[60:61]
	v_mul_f64 v[60:61], v[22:23], v[60:61]
	v_fma_f64 v[38:39], v[38:39], v[50:51], v[46:47]
	v_fma_f64 v[44:45], v[44:45], v[54:55], v[70:71]
	v_fma_f64 v[18:19], v[18:19], v[50:51], -v[52:53]
	v_fma_f64 v[46:47], v[48:49], v[54:55], -v[56:57]
	s_waitcnt vmcnt(1)
	v_mul_f64 v[48:49], v[36:37], v[64:65]
	v_mul_f64 v[50:51], v[24:25], v[64:65]
	s_waitcnt vmcnt(0)
	v_mul_f64 v[52:53], v[20:21], v[68:69]
	v_mul_f64 v[54:55], v[40:41], v[68:69]
	v_fma_f64 v[34:35], v[34:35], v[58:59], v[60:61]
	v_fma_f64 v[22:23], v[22:23], v[58:59], -v[72:73]
	v_add_f64 v[56:57], v[38:39], v[44:45]
	v_add_f64 v[58:59], v[18:19], v[46:47]
	v_fma_f64 v[24:25], v[24:25], v[62:63], -v[48:49]
	v_fma_f64 v[36:37], v[36:37], v[62:63], v[50:51]
	v_fma_f64 v[40:41], v[40:41], v[66:67], v[52:53]
	v_fma_f64 v[20:21], v[20:21], v[66:67], -v[54:55]
	v_add_f64 v[48:49], v[18:19], -v[46:47]
	v_add_f64 v[52:53], v[38:39], -v[44:45]
	v_add_f64 v[18:19], v[22:23], v[18:19]
	v_fma_f64 v[50:51], v[56:57], -0.5, v[34:35]
	v_add_f64 v[34:35], v[34:35], v[38:39]
	v_fma_f64 v[54:55], v[58:59], -0.5, v[22:23]
	v_add_f64 v[56:57], v[36:37], v[40:41]
	v_add_f64 v[58:59], v[24:25], v[20:21]
	v_add_f64 v[22:23], v[36:37], -v[40:41]
	v_add_f64 v[18:19], v[18:19], v[46:47]
	v_fma_f64 v[60:61], v[48:49], s[2:3], v[50:51]
	v_fma_f64 v[48:49], v[48:49], s[6:7], v[50:51]
	;; [unrolled: 1-line block ×4, first 2 shown]
	v_add_f64 v[52:53], v[24:25], -v[20:21]
	v_add_f64 v[54:55], v[4:5], v[36:37]
	v_add_f64 v[24:25], v[42:43], v[24:25]
	v_fma_f64 v[4:5], v[56:57], -0.5, v[4:5]
	v_fma_f64 v[36:37], v[58:59], -0.5, v[42:43]
	v_add_f64 v[44:45], v[34:35], v[44:45]
	v_mul_f64 v[38:39], v[60:61], -0.5
	v_mul_f64 v[56:57], v[48:49], s[2:3]
	v_mul_f64 v[42:43], v[62:63], s[6:7]
	v_mul_f64 v[58:59], v[50:51], -0.5
	v_add_f64 v[40:41], v[54:55], v[40:41]
	v_add_f64 v[20:21], v[24:25], v[20:21]
	v_fma_f64 v[24:25], v[52:53], s[2:3], v[4:5]
	v_fma_f64 v[4:5], v[52:53], s[6:7], v[4:5]
	;; [unrolled: 1-line block ×5, first 2 shown]
	v_fma_f64 v[54:55], v[62:63], 0.5, v[56:57]
	v_fma_f64 v[42:43], v[48:49], 0.5, v[42:43]
	v_fma_f64 v[58:59], v[60:61], s[2:3], v[58:59]
	v_add_f64 v[36:37], v[40:41], -v[44:45]
	v_add_f64 v[40:41], v[40:41], v[44:45]
	v_add_f64 v[38:39], v[20:21], v[18:19]
	v_add_f64 v[34:35], v[20:21], -v[18:19]
	v_add_co_u32 v18, vcc_lo, s8, v94
	v_add_co_ci_u32_e32 v19, vcc_lo, s9, v95, vcc_lo
	v_add_f64 v[44:45], v[24:25], -v[46:47]
	v_add_f64 v[50:51], v[22:23], v[54:55]
	v_add_f64 v[52:53], v[4:5], v[42:43]
	;; [unrolled: 1-line block ×4, first 2 shown]
	v_add_f64 v[56:57], v[4:5], -v[42:43]
	v_add_f64 v[54:55], v[22:23], -v[54:55]
	;; [unrolled: 1-line block ×3, first 2 shown]
	v_lshlrev_b64 v[4:5], 4, v[92:93]
	s_delay_alu instid0(VALU_DEP_1) | instskip(NEXT) | instid1(VALU_DEP_2)
	v_add_co_u32 v4, vcc_lo, v18, v4
	v_add_co_ci_u32_e32 v5, vcc_lo, v19, v5, vcc_lo
	s_delay_alu instid0(VALU_DEP_2) | instskip(NEXT) | instid1(VALU_DEP_2)
	v_add_co_u32 v18, vcc_lo, 0x1000, v4
	v_add_co_ci_u32_e32 v19, vcc_lo, 0, v5, vcc_lo
	v_add_co_u32 v20, vcc_lo, 0x2000, v4
	v_add_co_ci_u32_e32 v21, vcc_lo, 0, v5, vcc_lo
	;; [unrolled: 2-line block ×3, first 2 shown]
	s_clause 0x5
	global_store_b128 v[4:5], v[38:41], off
	global_store_b128 v[4:5], v[50:53], off offset:2992
	global_store_b128 v[18:19], v[46:49], off offset:1888
	;; [unrolled: 1-line block ×5, first 2 shown]
	s_and_b32 exec_lo, exec_lo, s0
	s_cbranch_execz .LBB0_22
; %bb.21:
	v_mov_b32_e32 v24, 0x66
	s_delay_alu instid0(VALU_DEP_1) | instskip(NEXT) | instid1(VALU_DEP_1)
	v_cndmask_b32_e64 v24, 0xffffffab, v24, s0
	v_add_nc_u32_e32 v24, v92, v24
	s_delay_alu instid0(VALU_DEP_1) | instskip(NEXT) | instid1(VALU_DEP_1)
	v_mul_i32_i24_e32 v92, 5, v24
	v_lshlrev_b64 v[24:25], 4, v[92:93]
	s_delay_alu instid0(VALU_DEP_1) | instskip(NEXT) | instid1(VALU_DEP_2)
	v_add_co_u32 v24, vcc_lo, s4, v24
	v_add_co_ci_u32_e32 v25, vcc_lo, s5, v25, vcc_lo
	s_clause 0x4
	global_load_b128 v[34:37], v[24:25], off offset:2752
	global_load_b128 v[38:41], v[24:25], off offset:2784
	global_load_b128 v[42:45], v[24:25], off offset:2720
	global_load_b128 v[46:49], v[24:25], off offset:2736
	global_load_b128 v[50:53], v[24:25], off offset:2768
	s_waitcnt vmcnt(4)
	v_mul_f64 v[24:25], v[32:33], v[36:37]
	v_mul_f64 v[36:37], v[16:17], v[36:37]
	s_waitcnt vmcnt(3)
	v_mul_f64 v[54:55], v[2:3], v[40:41]
	v_mul_f64 v[40:41], v[8:9], v[40:41]
	;; [unrolled: 3-line block ×3, first 2 shown]
	v_fma_f64 v[16:17], v[16:17], v[34:35], -v[24:25]
	v_fma_f64 v[24:25], v[32:33], v[34:35], v[36:37]
	v_fma_f64 v[8:9], v[8:9], v[38:39], v[54:55]
	v_fma_f64 v[2:3], v[2:3], v[38:39], -v[40:41]
	s_waitcnt vmcnt(1)
	v_mul_f64 v[32:33], v[30:31], v[48:49]
	v_mul_f64 v[34:35], v[14:15], v[48:49]
	s_waitcnt vmcnt(0)
	v_mul_f64 v[36:37], v[6:7], v[52:53]
	v_mul_f64 v[38:39], v[0:1], v[52:53]
	v_fma_f64 v[12:13], v[12:13], v[42:43], -v[56:57]
	v_fma_f64 v[28:29], v[28:29], v[42:43], v[44:45]
	v_add_f64 v[40:41], v[24:25], v[8:9]
	v_add_f64 v[42:43], v[16:17], v[2:3]
	v_fma_f64 v[14:15], v[14:15], v[46:47], -v[32:33]
	v_fma_f64 v[30:31], v[30:31], v[46:47], v[34:35]
	v_fma_f64 v[0:1], v[0:1], v[50:51], -v[36:37]
	v_fma_f64 v[6:7], v[6:7], v[50:51], v[38:39]
	v_add_f64 v[32:33], v[24:25], -v[8:9]
	v_add_f64 v[34:35], v[16:17], -v[2:3]
	v_fma_f64 v[36:37], v[40:41], -0.5, v[28:29]
	v_fma_f64 v[38:39], v[42:43], -0.5, v[12:13]
	v_add_f64 v[12:13], v[12:13], v[16:17]
	v_add_f64 v[16:17], v[28:29], v[24:25]
	;; [unrolled: 1-line block ×4, first 2 shown]
	v_fma_f64 v[44:45], v[34:35], s[6:7], v[36:37]
	v_fma_f64 v[46:47], v[32:33], s[6:7], v[38:39]
	;; [unrolled: 1-line block ×4, first 2 shown]
	v_add_f64 v[36:37], v[10:11], v[14:15]
	v_add_f64 v[38:39], v[30:31], -v[6:7]
	v_add_f64 v[30:31], v[26:27], v[30:31]
	v_fma_f64 v[10:11], v[40:41], -0.5, v[10:11]
	v_add_f64 v[14:15], v[14:15], -v[0:1]
	v_fma_f64 v[24:25], v[42:43], -0.5, v[26:27]
	v_add_f64 v[8:9], v[16:17], v[8:9]
	v_mul_f64 v[26:27], v[44:45], s[2:3]
	v_mul_f64 v[28:29], v[46:47], -0.5
	v_mul_f64 v[40:41], v[32:33], s[6:7]
	v_mul_f64 v[42:43], v[34:35], -0.5
	v_add_f64 v[36:37], v[36:37], v[0:1]
	v_add_f64 v[30:31], v[30:31], v[6:7]
	;; [unrolled: 1-line block ×3, first 2 shown]
	v_fma_f64 v[48:49], v[38:39], s[2:3], v[10:11]
	v_fma_f64 v[50:51], v[14:15], s[6:7], v[24:25]
	;; [unrolled: 1-line block ×4, first 2 shown]
	v_fma_f64 v[24:25], v[32:33], 0.5, v[26:27]
	v_fma_f64 v[26:27], v[34:35], s[2:3], v[28:29]
	v_fma_f64 v[32:33], v[44:45], 0.5, v[40:41]
	v_fma_f64 v[34:35], v[46:47], s[6:7], v[42:43]
	v_add_f64 v[2:3], v[30:31], v[8:9]
	v_add_f64 v[0:1], v[36:37], v[6:7]
	v_add_f64 v[6:7], v[36:37], -v[6:7]
	v_add_f64 v[8:9], v[30:31], -v[8:9]
	v_add_f64 v[10:11], v[48:49], v[24:25]
	v_add_f64 v[14:15], v[38:39], v[26:27]
	;; [unrolled: 1-line block ×4, first 2 shown]
	v_add_f64 v[24:25], v[48:49], -v[24:25]
	v_add_f64 v[28:29], v[38:39], -v[26:27]
	;; [unrolled: 1-line block ×4, first 2 shown]
	v_add_co_u32 v32, vcc_lo, 0x4000, v4
	v_add_co_ci_u32_e32 v33, vcc_lo, 0, v5, vcc_lo
	s_clause 0x5
	global_store_b128 v[4:5], v[0:3], off offset:1632
	global_store_b128 v[18:19], v[10:13], off offset:528
	;; [unrolled: 1-line block ×6, first 2 shown]
.LBB0_22:
	s_nop 0
	s_sendmsg sendmsg(MSG_DEALLOC_VGPRS)
	s_endpgm
	.section	.rodata,"a",@progbits
	.p2align	6, 0x0
	.amdhsa_kernel fft_rtc_fwd_len1122_factors_17_11_6_wgs_204_tpt_102_halfLds_dp_ip_CI_unitstride_sbrr_dirReg
		.amdhsa_group_segment_fixed_size 0
		.amdhsa_private_segment_fixed_size 0
		.amdhsa_kernarg_size 88
		.amdhsa_user_sgpr_count 15
		.amdhsa_user_sgpr_dispatch_ptr 0
		.amdhsa_user_sgpr_queue_ptr 0
		.amdhsa_user_sgpr_kernarg_segment_ptr 1
		.amdhsa_user_sgpr_dispatch_id 0
		.amdhsa_user_sgpr_private_segment_size 0
		.amdhsa_wavefront_size32 1
		.amdhsa_uses_dynamic_stack 0
		.amdhsa_enable_private_segment 0
		.amdhsa_system_sgpr_workgroup_id_x 1
		.amdhsa_system_sgpr_workgroup_id_y 0
		.amdhsa_system_sgpr_workgroup_id_z 0
		.amdhsa_system_sgpr_workgroup_info 0
		.amdhsa_system_vgpr_workitem_id 0
		.amdhsa_next_free_vgpr 208
		.amdhsa_next_free_sgpr 56
		.amdhsa_reserve_vcc 1
		.amdhsa_float_round_mode_32 0
		.amdhsa_float_round_mode_16_64 0
		.amdhsa_float_denorm_mode_32 3
		.amdhsa_float_denorm_mode_16_64 3
		.amdhsa_dx10_clamp 1
		.amdhsa_ieee_mode 1
		.amdhsa_fp16_overflow 0
		.amdhsa_workgroup_processor_mode 1
		.amdhsa_memory_ordered 1
		.amdhsa_forward_progress 0
		.amdhsa_shared_vgpr_count 0
		.amdhsa_exception_fp_ieee_invalid_op 0
		.amdhsa_exception_fp_denorm_src 0
		.amdhsa_exception_fp_ieee_div_zero 0
		.amdhsa_exception_fp_ieee_overflow 0
		.amdhsa_exception_fp_ieee_underflow 0
		.amdhsa_exception_fp_ieee_inexact 0
		.amdhsa_exception_int_div_zero 0
	.end_amdhsa_kernel
	.text
.Lfunc_end0:
	.size	fft_rtc_fwd_len1122_factors_17_11_6_wgs_204_tpt_102_halfLds_dp_ip_CI_unitstride_sbrr_dirReg, .Lfunc_end0-fft_rtc_fwd_len1122_factors_17_11_6_wgs_204_tpt_102_halfLds_dp_ip_CI_unitstride_sbrr_dirReg
                                        ; -- End function
	.section	.AMDGPU.csdata,"",@progbits
; Kernel info:
; codeLenInByte = 13608
; NumSgprs: 58
; NumVgprs: 208
; ScratchSize: 0
; MemoryBound: 1
; FloatMode: 240
; IeeeMode: 1
; LDSByteSize: 0 bytes/workgroup (compile time only)
; SGPRBlocks: 7
; VGPRBlocks: 25
; NumSGPRsForWavesPerEU: 58
; NumVGPRsForWavesPerEU: 208
; Occupancy: 7
; WaveLimiterHint : 1
; COMPUTE_PGM_RSRC2:SCRATCH_EN: 0
; COMPUTE_PGM_RSRC2:USER_SGPR: 15
; COMPUTE_PGM_RSRC2:TRAP_HANDLER: 0
; COMPUTE_PGM_RSRC2:TGID_X_EN: 1
; COMPUTE_PGM_RSRC2:TGID_Y_EN: 0
; COMPUTE_PGM_RSRC2:TGID_Z_EN: 0
; COMPUTE_PGM_RSRC2:TIDIG_COMP_CNT: 0
	.text
	.p2alignl 7, 3214868480
	.fill 96, 4, 3214868480
	.type	__hip_cuid_11b8e40c758482d2,@object ; @__hip_cuid_11b8e40c758482d2
	.section	.bss,"aw",@nobits
	.globl	__hip_cuid_11b8e40c758482d2
__hip_cuid_11b8e40c758482d2:
	.byte	0                               ; 0x0
	.size	__hip_cuid_11b8e40c758482d2, 1

	.ident	"AMD clang version 19.0.0git (https://github.com/RadeonOpenCompute/llvm-project roc-6.4.0 25133 c7fe45cf4b819c5991fe208aaa96edf142730f1d)"
	.section	".note.GNU-stack","",@progbits
	.addrsig
	.addrsig_sym __hip_cuid_11b8e40c758482d2
	.amdgpu_metadata
---
amdhsa.kernels:
  - .args:
      - .actual_access:  read_only
        .address_space:  global
        .offset:         0
        .size:           8
        .value_kind:     global_buffer
      - .offset:         8
        .size:           8
        .value_kind:     by_value
      - .actual_access:  read_only
        .address_space:  global
        .offset:         16
        .size:           8
        .value_kind:     global_buffer
      - .actual_access:  read_only
        .address_space:  global
        .offset:         24
        .size:           8
        .value_kind:     global_buffer
      - .offset:         32
        .size:           8
        .value_kind:     by_value
      - .actual_access:  read_only
        .address_space:  global
        .offset:         40
        .size:           8
        .value_kind:     global_buffer
      - .actual_access:  read_only
        .address_space:  global
        .offset:         48
        .size:           8
        .value_kind:     global_buffer
      - .offset:         56
        .size:           4
        .value_kind:     by_value
      - .actual_access:  read_only
        .address_space:  global
        .offset:         64
        .size:           8
        .value_kind:     global_buffer
      - .actual_access:  read_only
        .address_space:  global
        .offset:         72
        .size:           8
        .value_kind:     global_buffer
      - .address_space:  global
        .offset:         80
        .size:           8
        .value_kind:     global_buffer
    .group_segment_fixed_size: 0
    .kernarg_segment_align: 8
    .kernarg_segment_size: 88
    .language:       OpenCL C
    .language_version:
      - 2
      - 0
    .max_flat_workgroup_size: 204
    .name:           fft_rtc_fwd_len1122_factors_17_11_6_wgs_204_tpt_102_halfLds_dp_ip_CI_unitstride_sbrr_dirReg
    .private_segment_fixed_size: 0
    .sgpr_count:     58
    .sgpr_spill_count: 0
    .symbol:         fft_rtc_fwd_len1122_factors_17_11_6_wgs_204_tpt_102_halfLds_dp_ip_CI_unitstride_sbrr_dirReg.kd
    .uniform_work_group_size: 1
    .uses_dynamic_stack: false
    .vgpr_count:     208
    .vgpr_spill_count: 0
    .wavefront_size: 32
    .workgroup_processor_mode: 1
amdhsa.target:   amdgcn-amd-amdhsa--gfx1100
amdhsa.version:
  - 1
  - 2
...

	.end_amdgpu_metadata
